;; amdgpu-corpus repo=ROCm/rocFFT kind=compiled arch=gfx1030 opt=O3
	.text
	.amdgcn_target "amdgcn-amd-amdhsa--gfx1030"
	.amdhsa_code_object_version 6
	.protected	bluestein_single_fwd_len1232_dim1_dp_op_CI_CI ; -- Begin function bluestein_single_fwd_len1232_dim1_dp_op_CI_CI
	.globl	bluestein_single_fwd_len1232_dim1_dp_op_CI_CI
	.p2align	8
	.type	bluestein_single_fwd_len1232_dim1_dp_op_CI_CI,@function
bluestein_single_fwd_len1232_dim1_dp_op_CI_CI: ; @bluestein_single_fwd_len1232_dim1_dp_op_CI_CI
; %bb.0:
	s_load_dwordx4 s[8:11], s[4:5], 0x28
	v_mul_u32_u24_e32 v1, 0x175, v0
	s_mov_b64 s[42:43], s[2:3]
	s_mov_b64 s[40:41], s[0:1]
	v_mov_b32_e32 v8, 0
	s_add_u32 s40, s40, s7
	v_lshrrev_b32_e32 v1, 16, v1
	s_addc_u32 s41, s41, 0
	s_mov_b32 s0, exec_lo
	v_add_nc_u32_e32 v7, s6, v1
	s_waitcnt lgkmcnt(0)
	v_cmpx_gt_u64_e64 s[8:9], v[7:8]
	s_cbranch_execz .LBB0_47
; %bb.1:
	s_clause 0x1
	s_load_dwordx4 s[0:3], s[4:5], 0x18
	s_load_dwordx2 s[6:7], s[4:5], 0x0
	v_mul_lo_u16 v1, 0xb0, v1
	v_mov_b32_e32 v11, v7
	v_sub_nc_u16 v4, v0, v1
	v_and_b32_e32 v146, 0xffff, v4
	v_lshlrev_b32_e32 v2, 4, v146
	s_waitcnt lgkmcnt(0)
	s_load_dwordx4 s[12:15], s[0:1], 0x0
	global_load_dwordx4 v[72:75], v2, s[6:7]
	v_add_co_u32 v3, s0, s6, v2
	v_add_co_ci_u32_e64 v255, null, s7, 0, s0
	v_add_co_u32 v5, vcc_lo, 0x2000, v3
	v_add_co_ci_u32_e32 v6, vcc_lo, 0, v255, vcc_lo
	v_add_co_u32 v8, vcc_lo, 0x800, v3
	v_add_co_ci_u32_e32 v9, vcc_lo, 0, v255, vcc_lo
	v_add_co_u32 v14, vcc_lo, 0x3000, v3
	v_add_co_ci_u32_e32 v15, vcc_lo, 0, v255, vcc_lo
	s_waitcnt lgkmcnt(0)
	v_mad_u64_u32 v[12:13], null, s12, v146, 0
	v_mad_u64_u32 v[0:1], null, s14, v7, 0
	v_add_co_u32 v16, vcc_lo, 0x1000, v3
	v_add_co_ci_u32_e32 v17, vcc_lo, 0, v255, vcc_lo
	buffer_store_dword v11, off, s[40:43], 0 offset:12 ; 4-byte Folded Spill
	buffer_store_dword v12, off, s[40:43], 0 offset:16 ; 4-byte Folded Spill
	buffer_store_dword v5, off, s[40:43], 0 offset:4 ; 4-byte Folded Spill
	buffer_store_dword v6, off, s[40:43], 0 offset:8 ; 4-byte Folded Spill
	v_mov_b32_e32 v10, v13
	v_mad_u64_u32 v[18:19], null, s15, v7, v[1:2]
	v_add_co_u32 v20, vcc_lo, 0x3800, v3
	v_add_co_ci_u32_e32 v21, vcc_lo, 0, v255, vcc_lo
	s_mul_i32 s1, s13, 0x268
	s_mul_hi_u32 s7, s12, 0x268
	v_mov_b32_e32 v1, v18
	s_mul_i32 s0, s12, 0x268
	s_mul_hi_u32 s9, s12, 0xfffffe48
	s_add_i32 s1, s7, s1
	s_mul_i32 s8, s13, 0xfffffe48
	v_lshlrev_b64 v[0:1], 4, v[0:1]
	s_mul_i32 s6, s12, 0xfffffe48
	s_sub_i32 s7, s9, s12
	s_add_i32 s7, s7, s8
	v_add_co_u32 v0, vcc_lo, s10, v0
	v_add_co_ci_u32_e32 v1, vcc_lo, s11, v1, vcc_lo
	v_mad_u64_u32 v[22:23], null, s13, v146, v[10:11]
	s_lshl_b64 s[12:13], s[0:1], 4
	s_clause 0x1
	global_load_dwordx4 v[76:79], v[5:6], off offset:1664
	global_load_dwordx4 v[8:11], v[8:9], off offset:768
	s_lshl_b64 s[0:1], s[6:7], 4
	v_mov_b32_e32 v13, v22
	v_lshlrev_b64 v[12:13], 4, v[12:13]
	v_add_co_u32 v0, vcc_lo, v0, v12
	v_add_co_ci_u32_e32 v1, vcc_lo, v1, v13, vcc_lo
	global_load_dwordx4 v[12:15], v[14:15], off offset:384
	v_add_co_u32 v18, vcc_lo, v0, s12
	v_add_co_ci_u32_e32 v19, vcc_lo, s13, v1, vcc_lo
	s_clause 0x1
	global_load_dwordx4 v[24:27], v[0:1], off
	global_load_dwordx4 v[28:31], v[18:19], off
	v_add_co_u32 v22, vcc_lo, v18, s0
	v_add_co_ci_u32_e32 v23, vcc_lo, s1, v19, vcc_lo
	v_add_co_u32 v36, vcc_lo, v22, s12
	v_add_co_ci_u32_e32 v37, vcc_lo, s13, v23, vcc_lo
	global_load_dwordx4 v[32:35], v[22:23], off
	v_add_co_u32 v18, vcc_lo, v36, s0
	v_add_co_ci_u32_e32 v19, vcc_lo, s1, v37, vcc_lo
	v_add_co_u32 v0, vcc_lo, v18, s12
	v_add_co_ci_u32_e32 v1, vcc_lo, s13, v19, vcc_lo
	s_clause 0x1
	global_load_dwordx4 v[36:39], v[36:37], off
	global_load_dwordx4 v[40:43], v[18:19], off
	s_clause 0x1
	global_load_dwordx4 v[16:19], v[16:17], off offset:1536
	global_load_dwordx4 v[20:23], v[20:21], off offset:1152
	global_load_dwordx4 v[44:47], v[0:1], off
	v_cmp_gt_u16_e32 vcc_lo, 0x58, v4
	s_waitcnt vmcnt(7)
	v_mul_f64 v[48:49], v[26:27], v[74:75]
	s_waitcnt vmcnt(6)
	v_mul_f64 v[52:53], v[30:31], v[78:79]
	v_mul_f64 v[50:51], v[24:25], v[74:75]
	;; [unrolled: 1-line block ×3, first 2 shown]
	s_waitcnt vmcnt(5)
	v_mul_f64 v[56:57], v[34:35], v[10:11]
	v_mul_f64 v[58:59], v[32:33], v[10:11]
	s_waitcnt vmcnt(4)
	v_mul_f64 v[60:61], v[38:39], v[14:15]
	v_mul_f64 v[62:63], v[36:37], v[14:15]
	;; [unrolled: 3-line block ×3, first 2 shown]
	s_waitcnt vmcnt(0)
	v_mul_f64 v[68:69], v[46:47], v[22:23]
	v_fma_f64 v[24:25], v[24:25], v[72:73], v[48:49]
	buffer_store_dword v72, off, s[40:43], 0 offset:20 ; 4-byte Folded Spill
	buffer_store_dword v73, off, s[40:43], 0 offset:24 ; 4-byte Folded Spill
	;; [unrolled: 1-line block ×4, first 2 shown]
	v_fma_f64 v[28:29], v[28:29], v[76:77], v[52:53]
	buffer_store_dword v76, off, s[40:43], 0 offset:36 ; 4-byte Folded Spill
	buffer_store_dword v77, off, s[40:43], 0 offset:40 ; 4-byte Folded Spill
	;; [unrolled: 1-line block ×4, first 2 shown]
	v_mul_f64 v[70:71], v[44:45], v[22:23]
	s_load_dwordx2 s[6:7], s[4:5], 0x38
	s_load_dwordx4 s[8:11], s[2:3], 0x0
	v_fma_f64 v[32:33], v[32:33], v[8:9], v[56:57]
	v_fma_f64 v[34:35], v[34:35], v[8:9], -v[58:59]
	v_fma_f64 v[36:37], v[36:37], v[12:13], v[60:61]
	v_fma_f64 v[38:39], v[38:39], v[12:13], -v[62:63]
	;; [unrolled: 2-line block ×4, first 2 shown]
	v_fma_f64 v[26:27], v[26:27], v[72:73], -v[50:51]
	v_fma_f64 v[30:31], v[30:31], v[76:77], -v[54:55]
	ds_write_b128 v2, v[24:27]
	ds_write_b128 v2, v[28:31] offset:9856
	ds_write_b128 v2, v[32:35] offset:2816
	;; [unrolled: 1-line block ×5, first 2 shown]
	s_and_saveexec_b32 s2, vcc_lo
	s_cbranch_execz .LBB0_3
; %bb.2:
	v_add_co_u32 v0, s0, v0, s0
	v_add_co_ci_u32_e64 v1, s0, s1, v1, s0
	v_add_co_u32 v32, s0, 0x4000, v3
	v_add_co_ci_u32_e64 v33, s0, 0, v255, s0
	;; [unrolled: 2-line block ×3, first 2 shown]
	global_load_dwordx4 v[24:27], v[0:1], off
	s_clause 0x1
	buffer_load_dword v0, off, s[40:43], 0 offset:4
	buffer_load_dword v1, off, s[40:43], 0 offset:8
	s_waitcnt vmcnt(0)
	s_clause 0x1
	global_load_dwordx4 v[28:31], v[0:1], off offset:256
	global_load_dwordx4 v[32:35], v[32:33], off offset:1920
	global_load_dwordx4 v[36:39], v[36:37], off
	s_waitcnt vmcnt(2)
	v_mul_f64 v[0:1], v[26:27], v[30:31]
	v_mul_f64 v[30:31], v[24:25], v[30:31]
	s_waitcnt vmcnt(0)
	v_mul_f64 v[40:41], v[38:39], v[34:35]
	v_mul_f64 v[34:35], v[36:37], v[34:35]
	v_fma_f64 v[24:25], v[24:25], v[28:29], v[0:1]
	v_fma_f64 v[26:27], v[26:27], v[28:29], -v[30:31]
	v_fma_f64 v[28:29], v[36:37], v[32:33], v[40:41]
	v_fma_f64 v[30:31], v[38:39], v[32:33], -v[34:35]
	ds_write_b128 v2, v[24:27] offset:8448
	ds_write_b128 v2, v[28:31] offset:18304
.LBB0_3:
	s_or_b32 exec_lo, exec_lo, s2
	s_waitcnt lgkmcnt(0)
	s_waitcnt_vscnt null, 0x0
	s_barrier
	buffer_gl0_inv
	ds_read_b128 v[24:27], v2
	ds_read_b128 v[28:31], v2 offset:2816
	ds_read_b128 v[52:55], v2 offset:9856
	;; [unrolled: 1-line block ×5, first 2 shown]
                                        ; implicit-def: $vgpr40_vgpr41
                                        ; implicit-def: $vgpr44_vgpr45
	s_and_saveexec_b32 s0, vcc_lo
	s_cbranch_execz .LBB0_5
; %bb.4:
	ds_read_b128 v[40:43], v2 offset:8448
	ds_read_b128 v[44:47], v2 offset:18304
.LBB0_5:
	s_or_b32 exec_lo, exec_lo, s0
	s_waitcnt lgkmcnt(3)
	v_add_f64 v[52:53], v[24:25], -v[52:53]
	v_add_f64 v[54:55], v[26:27], -v[54:55]
	s_waitcnt lgkmcnt(0)
	v_add_f64 v[56:57], v[36:37], -v[32:33]
	v_add_f64 v[58:59], v[38:39], -v[34:35]
	;; [unrolled: 1-line block ×6, first 2 shown]
	s_load_dwordx2 s[2:3], s[4:5], 0x8
	v_lshlrev_b32_e32 v0, 1, v146
	v_add_co_u32 v60, null, 0x210, v146
	s_waitcnt lgkmcnt(0)
	s_barrier
	v_add_nc_u32_e32 v1, 0x160, v0
	v_add_nc_u32_e32 v92, 0x2c0, v0
	v_lshlrev_b32_e32 v5, 5, v60
	buffer_gl0_inv
	v_lshlrev_b32_e32 v6, 5, v146
	v_lshlrev_b32_e32 v7, 4, v1
	;; [unrolled: 1-line block ×3, first 2 shown]
	buffer_store_dword v5, off, s[40:43], 0 offset:96 ; 4-byte Folded Spill
	v_fma_f64 v[44:45], v[24:25], 2.0, -v[52:53]
	v_fma_f64 v[46:47], v[26:27], 2.0, -v[54:55]
	;; [unrolled: 1-line block ×8, first 2 shown]
	v_lshlrev_b32_e32 v5, 4, v92
	ds_write_b128 v6, v[52:55] offset:16
	ds_write_b128 v6, v[44:47]
	ds_write_b128 v4, v[28:31] offset:5632
	buffer_store_dword v7, off, s[40:43], 0 offset:56 ; 4-byte Folded Spill
	ds_write_b128 v7, v[48:51] offset:16
	ds_write_b128 v4, v[36:39] offset:11264
	buffer_store_dword v5, off, s[40:43], 0 offset:52 ; 4-byte Folded Spill
	ds_write_b128 v5, v[56:59] offset:16
	s_and_saveexec_b32 s0, vcc_lo
	s_cbranch_execz .LBB0_7
; %bb.6:
	v_lshlrev_b32_e32 v4, 5, v60
	ds_write_b128 v4, v[24:27]
	ds_write_b128 v4, v[32:35] offset:16
.LBB0_7:
	s_or_b32 exec_lo, exec_lo, s0
	s_waitcnt lgkmcnt(0)
	s_waitcnt_vscnt null, 0x0
	s_barrier
	buffer_gl0_inv
	ds_read_b128 v[40:43], v2
	ds_read_b128 v[44:47], v2 offset:2816
	ds_read_b128 v[36:39], v2 offset:9856
	;; [unrolled: 1-line block ×5, first 2 shown]
	s_and_saveexec_b32 s0, vcc_lo
	s_cbranch_execz .LBB0_9
; %bb.8:
	ds_read_b128 v[24:27], v2 offset:8448
	ds_read_b128 v[32:35], v2 offset:18304
.LBB0_9:
	s_or_b32 exec_lo, exec_lo, s0
	v_and_b32_e32 v6, 1, v146
	v_lshlrev_b32_e32 v5, 1, v60
	v_lshlrev_b32_e32 v4, 4, v6
	buffer_store_dword v5, off, s[40:43], 0 ; 4-byte Folded Spill
	v_and_or_b32 v5, 0x3fc, v1, v6
	global_load_dwordx4 v[28:31], v4, s[2:3]
	v_and_or_b32 v4, 0x1fc, v0, v6
	v_and_or_b32 v6, 0x7fc, v92, v6
	v_lshlrev_b32_e32 v5, 4, v5
	s_waitcnt vmcnt(0) lgkmcnt(0)
	s_waitcnt_vscnt null, 0x0
	s_barrier
	v_lshlrev_b32_e32 v7, 4, v4
	v_lshlrev_b32_e32 v4, 4, v6
	buffer_gl0_inv
	buffer_store_dword v7, off, s[40:43], 0 offset:68 ; 4-byte Folded Spill
	v_mul_f64 v[61:62], v[38:39], v[30:31]
	v_mul_f64 v[63:64], v[36:37], v[30:31]
	;; [unrolled: 1-line block ×8, first 2 shown]
	v_fma_f64 v[36:37], v[36:37], v[28:29], -v[61:62]
	v_fma_f64 v[38:39], v[38:39], v[28:29], v[63:64]
	v_fma_f64 v[56:57], v[56:57], v[28:29], -v[65:66]
	v_fma_f64 v[58:59], v[58:59], v[28:29], v[67:68]
	;; [unrolled: 2-line block ×4, first 2 shown]
	v_add_f64 v[32:33], v[40:41], -v[36:37]
	v_add_f64 v[34:35], v[42:43], -v[38:39]
	;; [unrolled: 1-line block ×8, first 2 shown]
	v_fma_f64 v[40:41], v[40:41], 2.0, -v[32:33]
	v_fma_f64 v[42:43], v[42:43], 2.0, -v[34:35]
	;; [unrolled: 1-line block ×8, first 2 shown]
	ds_write_b128 v7, v[32:35] offset:32
	ds_write_b128 v7, v[40:43]
	ds_write_b128 v5, v[44:47]
	buffer_store_dword v5, off, s[40:43], 0 offset:64 ; 4-byte Folded Spill
	ds_write_b128 v5, v[52:55] offset:32
	ds_write_b128 v4, v[48:51]
	buffer_store_dword v4, off, s[40:43], 0 offset:60 ; 4-byte Folded Spill
	ds_write_b128 v4, v[56:59] offset:32
	s_and_saveexec_b32 s0, vcc_lo
	s_cbranch_execz .LBB0_11
; %bb.10:
	buffer_load_dword v4, off, s[40:43], 0  ; 4-byte Folded Reload
	v_and_b32_e32 v5, 1, v146
	s_waitcnt vmcnt(0)
	v_and_or_b32 v4, 0x5fc, v4, v5
	v_lshlrev_b32_e32 v4, 4, v4
	ds_write_b128 v4, v[24:27]
	ds_write_b128 v4, v[36:39] offset:32
.LBB0_11:
	s_or_b32 exec_lo, exec_lo, s0
	s_waitcnt lgkmcnt(0)
	s_waitcnt_vscnt null, 0x0
	s_barrier
	buffer_gl0_inv
	ds_read_b128 v[44:47], v2
	ds_read_b128 v[48:51], v2 offset:2816
	ds_read_b128 v[40:43], v2 offset:9856
	;; [unrolled: 1-line block ×5, first 2 shown]
	s_and_saveexec_b32 s0, vcc_lo
	s_cbranch_execz .LBB0_13
; %bb.12:
	ds_read_b128 v[24:27], v2 offset:8448
	ds_read_b128 v[36:39], v2 offset:18304
.LBB0_13:
	s_or_b32 exec_lo, exec_lo, s0
	v_and_b32_e32 v6, 3, v146
	v_lshlrev_b32_e32 v4, 4, v6
	v_and_or_b32 v5, 0x3f8, v1, v6
	global_load_dwordx4 v[32:35], v4, s[2:3] offset:32
	v_and_or_b32 v4, 0x1f8, v0, v6
	v_and_or_b32 v6, 0x7f8, v92, v6
	v_lshlrev_b32_e32 v5, 4, v5
	s_waitcnt vmcnt(0) lgkmcnt(0)
	s_barrier
	v_lshlrev_b32_e32 v7, 4, v4
	v_lshlrev_b32_e32 v4, 4, v6
	buffer_gl0_inv
	buffer_store_dword v7, off, s[40:43], 0 offset:80 ; 4-byte Folded Spill
	v_mul_f64 v[64:65], v[42:43], v[34:35]
	v_mul_f64 v[66:67], v[40:41], v[34:35]
	;; [unrolled: 1-line block ×8, first 2 shown]
	v_fma_f64 v[40:41], v[40:41], v[32:33], -v[64:65]
	v_fma_f64 v[42:43], v[42:43], v[32:33], v[66:67]
	v_fma_f64 v[60:61], v[60:61], v[32:33], -v[68:69]
	v_fma_f64 v[62:63], v[62:63], v[32:33], v[70:71]
	;; [unrolled: 2-line block ×4, first 2 shown]
	v_add_f64 v[36:37], v[44:45], -v[40:41]
	v_add_f64 v[38:39], v[46:47], -v[42:43]
	;; [unrolled: 1-line block ×8, first 2 shown]
	v_fma_f64 v[44:45], v[44:45], 2.0, -v[36:37]
	v_fma_f64 v[46:47], v[46:47], 2.0, -v[38:39]
	;; [unrolled: 1-line block ×8, first 2 shown]
	ds_write_b128 v7, v[36:39] offset:64
	ds_write_b128 v7, v[44:47]
	ds_write_b128 v5, v[48:51]
	buffer_store_dword v5, off, s[40:43], 0 offset:76 ; 4-byte Folded Spill
	ds_write_b128 v5, v[56:59] offset:64
	ds_write_b128 v4, v[52:55]
	buffer_store_dword v4, off, s[40:43], 0 offset:72 ; 4-byte Folded Spill
	ds_write_b128 v4, v[60:63] offset:64
	s_and_saveexec_b32 s0, vcc_lo
	s_cbranch_execz .LBB0_15
; %bb.14:
	buffer_load_dword v4, off, s[40:43], 0  ; 4-byte Folded Reload
	v_and_b32_e32 v5, 3, v146
	s_waitcnt vmcnt(0)
	v_and_or_b32 v4, 0x5f8, v4, v5
	v_lshlrev_b32_e32 v4, 4, v4
	ds_write_b128 v4, v[24:27]
	ds_write_b128 v4, v[40:43] offset:64
.LBB0_15:
	s_or_b32 exec_lo, exec_lo, s0
	s_waitcnt lgkmcnt(0)
	s_waitcnt_vscnt null, 0x0
	s_barrier
	buffer_gl0_inv
	ds_read_b128 v[44:47], v2
	ds_read_b128 v[48:51], v2 offset:2816
	ds_read_b128 v[56:59], v2 offset:9856
	;; [unrolled: 1-line block ×5, first 2 shown]
	s_and_saveexec_b32 s0, vcc_lo
	s_cbranch_execz .LBB0_17
; %bb.16:
	ds_read_b128 v[24:27], v2 offset:8448
	ds_read_b128 v[40:43], v2 offset:18304
.LBB0_17:
	s_or_b32 exec_lo, exec_lo, s0
	v_and_b32_e32 v5, 7, v146
	v_lshlrev_b32_e32 v4, 4, v5
	v_and_or_b32 v0, 0x1f0, v0, v5
	v_and_or_b32 v1, 0x3f0, v1, v5
	global_load_dwordx4 v[36:39], v4, s[2:3] offset:96
	v_and_or_b32 v4, 0x7f0, v92, v5
	v_lshlrev_b32_e32 v5, 4, v0
	v_lshlrev_b32_e32 v1, 4, v1
	s_waitcnt vmcnt(0) lgkmcnt(0)
	s_barrier
	v_lshlrev_b32_e32 v0, 4, v4
	buffer_gl0_inv
	buffer_store_dword v5, off, s[40:43], 0 offset:92 ; 4-byte Folded Spill
	v_mul_f64 v[68:69], v[58:59], v[38:39]
	v_mul_f64 v[70:71], v[56:57], v[38:39]
	;; [unrolled: 1-line block ×8, first 2 shown]
	v_fma_f64 v[56:57], v[56:57], v[36:37], -v[68:69]
	v_fma_f64 v[58:59], v[58:59], v[36:37], v[70:71]
	v_fma_f64 v[64:65], v[64:65], v[36:37], -v[72:73]
	v_fma_f64 v[66:67], v[66:67], v[36:37], v[74:75]
	;; [unrolled: 2-line block ×4, first 2 shown]
	v_add_f64 v[60:61], v[44:45], -v[56:57]
	v_add_f64 v[62:63], v[46:47], -v[58:59]
	;; [unrolled: 1-line block ×8, first 2 shown]
	v_fma_f64 v[84:85], v[44:45], 2.0, -v[60:61]
	v_fma_f64 v[86:87], v[46:47], 2.0, -v[62:63]
	;; [unrolled: 1-line block ×8, first 2 shown]
	ds_write_b128 v5, v[60:63] offset:128
	ds_write_b128 v5, v[84:87]
	ds_write_b128 v1, v[80:83]
	buffer_store_dword v1, off, s[40:43], 0 offset:88 ; 4-byte Folded Spill
	ds_write_b128 v1, v[64:67] offset:128
	ds_write_b128 v0, v[88:91]
	buffer_store_dword v0, off, s[40:43], 0 offset:84 ; 4-byte Folded Spill
	ds_write_b128 v0, v[68:71] offset:128
	s_and_saveexec_b32 s0, vcc_lo
	s_cbranch_execz .LBB0_19
; %bb.18:
	buffer_load_dword v0, off, s[40:43], 0  ; 4-byte Folded Reload
	v_and_b32_e32 v1, 7, v146
	s_waitcnt vmcnt(0)
	v_and_or_b32 v0, 0x5f0, v0, v1
	v_lshlrev_b32_e32 v0, 4, v0
	ds_write_b128 v0, v[72:75]
	ds_write_b128 v0, v[76:79] offset:128
.LBB0_19:
	s_or_b32 exec_lo, exec_lo, s0
	v_cmp_gt_u16_e64 s0, 0x70, v146
	s_waitcnt lgkmcnt(0)
	s_waitcnt_vscnt null, 0x0
	s_barrier
	buffer_gl0_inv
                                        ; implicit-def: $vgpr92_vgpr93
                                        ; implicit-def: $vgpr96_vgpr97
                                        ; implicit-def: $vgpr100_vgpr101
	s_and_saveexec_b32 s1, s0
	s_cbranch_execz .LBB0_21
; %bb.20:
	ds_read_b128 v[84:87], v2
	ds_read_b128 v[60:63], v2 offset:1792
	ds_read_b128 v[80:83], v2 offset:3584
	;; [unrolled: 1-line block ×10, first 2 shown]
.LBB0_21:
	s_or_b32 exec_lo, exec_lo, s1
	v_and_b32_e32 v0, 15, v146
	s_mov_b32 s20, 0xf8bb580b
	s_mov_b32 s21, 0xbfe14ced
	;; [unrolled: 1-line block ×4, first 2 shown]
	v_mad_u64_u32 v[0:1], null, 0xa0, v0, s[2:3]
	s_mov_b32 s5, 0x3feaeb8c
	s_mov_b32 s23, 0xbfed1bb4
	;; [unrolled: 1-line block ×6, first 2 shown]
	s_clause 0x5
	global_load_dwordx4 v[24:27], v[0:1], off offset:224
	global_load_dwordx4 v[48:51], v[0:1], off offset:368
	;; [unrolled: 1-line block ×6, first 2 shown]
	s_mov_b32 s14, 0x640f44db
	s_mov_b32 s15, 0xbfc2375f
	;; [unrolled: 1-line block ×18, first 2 shown]
	s_waitcnt vmcnt(5) lgkmcnt(9)
	v_mul_f64 v[104:105], v[60:61], v[26:27]
	v_mul_f64 v[106:107], v[62:63], v[26:27]
	v_fma_f64 v[155:156], v[62:63], v[24:25], v[104:105]
	v_fma_f64 v[153:154], v[60:61], v[24:25], -v[106:107]
	s_waitcnt vmcnt(4) lgkmcnt(0)
	v_mul_f64 v[60:61], v[100:101], v[50:51]
	v_mul_f64 v[62:63], v[102:103], v[50:51]
	v_fma_f64 v[102:103], v[102:103], v[48:49], v[60:61]
	v_fma_f64 v[100:101], v[100:101], v[48:49], -v[62:63]
	s_waitcnt vmcnt(3)
	v_mul_f64 v[60:61], v[80:81], v[42:43]
	v_mul_f64 v[62:63], v[82:83], v[42:43]
	v_add_f64 v[215:216], v[155:156], -v[102:103]
	v_add_f64 v[213:214], v[153:154], v[100:101]
	v_fma_f64 v[120:121], v[82:83], v[40:41], v[60:61]
	v_fma_f64 v[118:119], v[80:81], v[40:41], -v[62:63]
	s_waitcnt vmcnt(2)
	v_mul_f64 v[60:61], v[66:67], v[46:47]
	v_mul_f64 v[62:63], v[64:65], v[46:47]
	v_add_f64 v[237:238], v[153:154], -v[100:101]
	v_add_f64 v[233:234], v[155:156], v[102:103]
	v_mul_f64 v[221:222], v[215:216], s[20:21]
	v_mul_f64 v[247:248], v[215:216], s[22:23]
	;; [unrolled: 1-line block ×4, first 2 shown]
	v_fma_f64 v[104:105], v[64:65], v[44:45], -v[60:61]
	v_fma_f64 v[108:109], v[66:67], v[44:45], v[62:63]
	s_waitcnt vmcnt(1)
	v_mul_f64 v[60:61], v[90:91], v[54:55]
	v_mul_f64 v[62:63], v[88:89], v[54:55]
	;; [unrolled: 1-line block ×5, first 2 shown]
	v_fma_f64 v[106:107], v[88:89], v[52:53], -v[60:61]
	v_fma_f64 v[110:111], v[90:91], v[52:53], v[62:63]
	s_waitcnt vmcnt(0)
	v_mul_f64 v[60:61], v[96:97], v[58:59]
	v_mul_f64 v[62:63], v[98:99], v[58:59]
	v_fma_f64 v[90:91], v[98:99], v[56:57], v[60:61]
	v_fma_f64 v[88:89], v[96:97], v[56:57], -v[62:63]
	s_clause 0x1
	global_load_dwordx4 v[60:63], v[0:1], off offset:288
	global_load_dwordx4 v[64:67], v[0:1], off offset:304
	v_add_f64 v[134:135], v[120:121], -v[90:91]
	v_add_f64 v[140:141], v[118:119], -v[88:89]
	v_add_f64 v[136:137], v[120:121], v[90:91]
	v_mul_f64 v[165:166], v[134:135], s[22:23]
	v_mul_f64 v[169:170], v[140:141], s[22:23]
	;; [unrolled: 1-line block ×8, first 2 shown]
	v_fma_f64 v[82:83], v[136:137], s[18:19], -v[201:202]
	v_fma_f64 v[98:99], v[136:137], s[26:27], -v[229:230]
	;; [unrolled: 1-line block ×3, first 2 shown]
	s_waitcnt vmcnt(1)
	v_mul_f64 v[80:81], v[70:71], v[62:63]
	v_fma_f64 v[130:131], v[68:69], v[60:61], -v[80:81]
	v_mul_f64 v[68:69], v[68:69], v[62:63]
	v_fma_f64 v[132:133], v[70:71], v[60:61], v[68:69]
	s_waitcnt vmcnt(0)
	v_mul_f64 v[68:69], v[74:75], v[66:67]
	v_fma_f64 v[126:127], v[72:73], v[64:65], -v[68:69]
	v_mul_f64 v[68:69], v[72:73], v[66:67]
	v_add_f64 v[138:139], v[130:131], v[126:127]
	v_fma_f64 v[128:129], v[74:75], v[64:65], v[68:69]
	s_clause 0x1
	global_load_dwordx4 v[68:71], v[0:1], off offset:320
	global_load_dwordx4 v[72:75], v[0:1], off offset:336
	v_add_f64 v[207:208], v[130:131], -v[126:127]
	s_waitcnt vmcnt(0)
	s_barrier
	buffer_gl0_inv
	v_add_f64 v[147:148], v[132:133], -v[128:129]
	v_add_f64 v[159:160], v[132:133], v[128:129]
	v_mul_f64 v[219:220], v[207:208], s[36:37]
	v_mul_f64 v[171:172], v[207:208], s[30:31]
	;; [unrolled: 1-line block ×7, first 2 shown]
	v_fma_f64 v[122:123], v[76:77], v[68:69], -v[0:1]
	v_mul_f64 v[0:1], v[76:77], v[70:71]
	v_add_f64 v[142:143], v[106:107], v[122:123]
	v_fma_f64 v[124:125], v[78:79], v[68:69], v[0:1]
	v_mul_f64 v[0:1], v[94:95], v[74:75]
	v_fma_f64 v[78:79], v[136:137], s[12:13], -v[169:170]
	v_add_f64 v[185:186], v[106:107], -v[122:123]
	v_add_f64 v[149:150], v[110:111], -v[124:125]
	v_fma_f64 v[116:117], v[92:93], v[72:73], -v[0:1]
	v_mul_f64 v[0:1], v[92:93], v[74:75]
	v_add_f64 v[163:164], v[110:111], v[124:125]
	v_mul_f64 v[197:198], v[185:186], s[24:25]
	v_mul_f64 v[183:184], v[185:186], s[34:35]
	;; [unrolled: 1-line block ×5, first 2 shown]
	v_add_f64 v[151:152], v[104:105], v[116:117]
	v_fma_f64 v[92:93], v[94:95], v[72:73], v[0:1]
	v_fma_f64 v[0:1], v[213:214], s[4:5], v[221:222]
	v_add_f64 v[94:95], v[118:119], v[88:89]
	v_add_f64 v[173:174], v[104:105], -v[116:117]
	v_mul_f64 v[175:176], v[149:150], s[34:35]
	v_mul_f64 v[199:200], v[149:150], s[20:21]
	;; [unrolled: 1-line block ×3, first 2 shown]
	v_add_f64 v[157:158], v[108:109], -v[92:93]
	v_add_f64 v[0:1], v[84:85], v[0:1]
	v_fma_f64 v[76:77], v[94:95], s[12:13], v[165:166]
	v_add_f64 v[161:162], v[108:109], v[92:93]
	v_mul_f64 v[181:182], v[173:174], s[16:17]
	v_fma_f64 v[80:81], v[94:95], s[18:19], v[195:196]
	v_mul_f64 v[191:192], v[173:174], s[38:39]
	v_fma_f64 v[96:97], v[94:95], s[26:27], v[225:226]
	;; [unrolled: 2-line block ×3, first 2 shown]
	v_mul_f64 v[241:242], v[173:174], s[20:21]
	v_mul_f64 v[179:180], v[157:158], s[16:17]
	;; [unrolled: 1-line block ×3, first 2 shown]
	v_add_f64 v[0:1], v[76:77], v[0:1]
	v_fma_f64 v[76:77], v[233:234], s[4:5], -v[235:236]
	v_mul_f64 v[217:218], v[157:158], s[28:29]
	v_mul_f64 v[239:240], v[157:158], s[20:21]
	v_add_f64 v[76:77], v[86:87], v[76:77]
	v_add_f64 v[76:77], v[78:79], v[76:77]
	v_fma_f64 v[78:79], v[151:152], s[14:15], v[179:180]
	v_add_f64 v[0:1], v[78:79], v[0:1]
	v_fma_f64 v[78:79], v[161:162], s[14:15], -v[181:182]
	v_add_f64 v[76:77], v[78:79], v[76:77]
	v_fma_f64 v[78:79], v[142:143], s[18:19], v[193:194]
	v_add_f64 v[0:1], v[78:79], v[0:1]
	v_fma_f64 v[78:79], v[163:164], s[18:19], -v[197:198]
	v_add_f64 v[78:79], v[78:79], v[76:77]
	v_fma_f64 v[76:77], v[138:139], s[26:27], v[211:212]
	v_add_f64 v[76:77], v[76:77], v[0:1]
	v_fma_f64 v[0:1], v[159:160], s[26:27], -v[219:220]
	v_add_f64 v[78:79], v[0:1], v[78:79]
	v_fma_f64 v[0:1], v[213:214], s[12:13], v[247:248]
	v_add_f64 v[0:1], v[84:85], v[0:1]
	v_add_f64 v[0:1], v[80:81], v[0:1]
	v_fma_f64 v[80:81], v[233:234], s[12:13], -v[249:250]
	v_add_f64 v[80:81], v[86:87], v[80:81]
	v_add_f64 v[80:81], v[82:83], v[80:81]
	v_fma_f64 v[82:83], v[151:152], s[26:27], v[189:190]
	v_add_f64 v[0:1], v[82:83], v[0:1]
	v_fma_f64 v[82:83], v[161:162], s[26:27], -v[191:192]
	v_add_f64 v[80:81], v[82:83], v[80:81]
	v_fma_f64 v[82:83], v[142:143], s[14:15], v[175:176]
	v_add_f64 v[0:1], v[82:83], v[0:1]
	v_fma_f64 v[82:83], v[163:164], s[14:15], -v[183:184]
	;; [unrolled: 4-line block ×3, first 2 shown]
	v_add_f64 v[82:83], v[0:1], v[82:83]
	v_fma_f64 v[0:1], v[213:214], s[14:15], v[251:252]
	v_add_f64 v[0:1], v[84:85], v[0:1]
	v_add_f64 v[0:1], v[96:97], v[0:1]
	v_fma_f64 v[96:97], v[233:234], s[14:15], -v[253:254]
	v_add_f64 v[96:97], v[86:87], v[96:97]
	v_add_f64 v[96:97], v[98:99], v[96:97]
	v_fma_f64 v[98:99], v[151:152], s[12:13], v[217:218]
	v_add_f64 v[0:1], v[98:99], v[0:1]
	v_fma_f64 v[98:99], v[161:162], s[12:13], -v[223:224]
	v_add_f64 v[96:97], v[98:99], v[96:97]
	v_fma_f64 v[98:99], v[142:143], s[4:5], v[199:200]
	v_add_f64 v[0:1], v[98:99], v[0:1]
	v_fma_f64 v[98:99], v[163:164], s[4:5], -v[205:206]
	;; [unrolled: 4-line block ×3, first 2 shown]
	v_add_f64 v[98:99], v[0:1], v[98:99]
	v_fma_f64 v[0:1], v[213:214], s[18:19], v[144:145]
	v_add_f64 v[0:1], v[84:85], v[0:1]
	v_add_f64 v[112:113], v[112:113], v[0:1]
	v_mul_f64 v[0:1], v[237:238], s[24:25]
	v_fma_f64 v[114:115], v[233:234], s[18:19], -v[0:1]
	v_add_f64 v[114:115], v[86:87], v[114:115]
	v_add_f64 v[114:115], v[203:204], v[114:115]
	v_fma_f64 v[203:204], v[151:152], s[4:5], v[239:240]
	v_add_f64 v[112:113], v[203:204], v[112:113]
	v_fma_f64 v[203:204], v[161:162], s[4:5], -v[241:242]
	v_add_f64 v[114:115], v[203:204], v[114:115]
	v_fma_f64 v[203:204], v[142:143], s[26:27], v[227:228]
	v_add_f64 v[112:113], v[203:204], v[112:113]
	v_fma_f64 v[203:204], v[163:164], s[26:27], -v[231:232]
	v_add_f64 v[114:115], v[203:204], v[114:115]
	v_mul_f64 v[203:204], v[147:148], s[28:29]
	v_fma_f64 v[209:210], v[138:139], s[12:13], v[203:204]
	v_add_f64 v[112:113], v[209:210], v[112:113]
	v_mul_f64 v[209:210], v[207:208], s[28:29]
	v_fma_f64 v[4:5], v[159:160], s[12:13], -v[209:210]
	v_add_f64 v[114:115], v[4:5], v[114:115]
	s_and_saveexec_b32 s1, s0
	s_cbranch_execz .LBB0_23
; %bb.22:
	v_mul_f64 v[4:5], v[233:234], s[26:27]
	v_mul_f64 v[215:216], v[215:216], s[36:37]
	v_add_f64 v[155:156], v[86:87], v[155:156]
	v_add_f64 v[153:154], v[84:85], v[153:154]
	v_mul_f64 v[134:135], v[134:135], s[30:31]
	v_fma_f64 v[6:7], v[237:238], s[38:39], v[4:5]
	v_fma_f64 v[4:5], v[237:238], s[36:37], v[4:5]
	v_mul_f64 v[237:238], v[233:234], s[18:19]
	v_add_f64 v[118:119], v[153:154], v[118:119]
	v_mul_f64 v[153:154], v[159:160], s[14:15]
	v_add_f64 v[120:121], v[155:156], v[120:121]
	v_add_f64 v[6:7], v[86:87], v[6:7]
	;; [unrolled: 1-line block ×4, first 2 shown]
	v_mul_f64 v[237:238], v[233:234], s[14:15]
	v_fma_f64 v[155:156], v[207:208], s[34:35], v[153:154]
	v_fma_f64 v[153:154], v[207:208], s[16:17], v[153:154]
	v_mul_f64 v[207:208], v[163:164], s[12:13]
	v_add_f64 v[104:105], v[118:119], v[104:105]
	v_add_f64 v[108:109], v[120:121], v[108:109]
	v_mul_f64 v[120:121], v[157:158], s[24:25]
	v_mul_f64 v[118:119], v[161:162], s[12:13]
	;; [unrolled: 1-line block ×3, first 2 shown]
	v_add_f64 v[0:1], v[86:87], v[0:1]
	v_add_f64 v[237:238], v[253:254], v[237:238]
	v_mul_f64 v[253:254], v[233:234], s[12:13]
	v_mul_f64 v[233:234], v[233:234], s[4:5]
	v_add_f64 v[104:105], v[104:105], v[106:107]
	v_add_f64 v[108:109], v[108:109], v[110:111]
	v_mul_f64 v[110:111], v[161:162], s[26:27]
	v_mul_f64 v[106:107], v[151:152], s[12:13]
	v_add_f64 v[118:119], v[223:224], v[118:119]
	v_add_f64 v[157:158], v[157:158], -v[227:228]
	v_add_f64 v[237:238], v[86:87], v[237:238]
	v_add_f64 v[249:250], v[249:250], v[253:254]
	;; [unrolled: 1-line block ×3, first 2 shown]
	v_mul_f64 v[235:236], v[213:214], s[4:5]
	v_add_f64 v[104:105], v[104:105], v[130:131]
	v_add_f64 v[108:109], v[108:109], v[132:133]
	v_fma_f64 v[130:131], v[151:152], s[18:19], v[120:121]
	v_fma_f64 v[120:121], v[151:152], s[18:19], -v[120:121]
	v_mul_f64 v[132:133], v[151:152], s[26:27]
	v_add_f64 v[110:111], v[191:192], v[110:111]
	v_add_f64 v[106:107], v[106:107], -v[217:218]
	v_add_f64 v[249:250], v[86:87], v[249:250]
	v_add_f64 v[86:87], v[86:87], v[233:234]
	v_add_f64 v[221:222], v[235:236], -v[221:222]
	v_mul_f64 v[235:236], v[213:214], s[12:13]
	v_add_f64 v[104:105], v[104:105], v[126:127]
	v_add_f64 v[108:109], v[108:109], v[128:129]
	v_mul_f64 v[126:127], v[163:164], s[4:5]
	v_add_f64 v[132:133], v[132:133], -v[189:190]
	v_mul_f64 v[128:129], v[142:143], s[4:5]
	v_add_f64 v[221:222], v[84:85], v[221:222]
	v_add_f64 v[235:236], v[235:236], -v[247:248]
	v_mul_f64 v[247:248], v[213:214], s[14:15]
	v_add_f64 v[104:105], v[104:105], v[122:123]
	v_mul_f64 v[122:123], v[149:150], s[28:29]
	v_add_f64 v[108:109], v[108:109], v[124:125]
	v_add_f64 v[126:127], v[205:206], v[126:127]
	v_mul_f64 v[149:150], v[138:139], s[12:13]
	v_add_f64 v[128:129], v[128:129], -v[199:200]
	v_add_f64 v[233:234], v[84:85], v[235:236]
	v_add_f64 v[247:248], v[247:248], -v[251:252]
	v_mul_f64 v[251:252], v[213:214], s[18:19]
	v_fma_f64 v[124:125], v[142:143], s[12:13], v[122:123]
	v_add_f64 v[92:93], v[108:109], v[92:93]
	v_add_f64 v[104:105], v[104:105], v[116:117]
	v_mul_f64 v[108:109], v[138:139], s[18:19]
	v_mul_f64 v[116:117], v[159:160], s[4:5]
	v_fma_f64 v[122:123], v[142:143], s[12:13], -v[122:123]
	v_add_f64 v[149:150], v[149:150], -v[203:204]
	v_add_f64 v[235:236], v[84:85], v[247:248]
	v_add_f64 v[144:145], v[251:252], -v[144:145]
	v_fma_f64 v[251:252], v[213:214], s[26:27], v[215:216]
	v_fma_f64 v[213:214], v[213:214], s[26:27], -v[215:216]
	v_add_f64 v[108:109], v[108:109], -v[177:178]
	v_add_f64 v[116:117], v[171:172], v[116:117]
	v_add_f64 v[144:145], v[84:85], v[144:145]
	;; [unrolled: 1-line block ×4, first 2 shown]
	v_mul_f64 v[213:214], v[136:137], s[12:13]
	v_add_f64 v[169:170], v[169:170], v[213:214]
	v_mul_f64 v[213:214], v[94:95], s[12:13]
	v_add_f64 v[86:87], v[169:170], v[86:87]
	v_add_f64 v[165:166], v[213:214], -v[165:166]
	v_mul_f64 v[213:214], v[161:162], s[14:15]
	v_add_f64 v[165:166], v[165:166], v[221:222]
	v_add_f64 v[181:182], v[181:182], v[213:214]
	v_mul_f64 v[213:214], v[151:152], s[14:15]
	v_add_f64 v[86:87], v[181:182], v[86:87]
	v_add_f64 v[179:180], v[213:214], -v[179:180]
	v_mul_f64 v[213:214], v[163:164], s[18:19]
	v_add_f64 v[197:198], v[197:198], v[213:214]
	v_mul_f64 v[213:214], v[142:143], s[18:19]
	v_add_f64 v[193:194], v[213:214], -v[193:194]
	v_mul_f64 v[213:214], v[159:160], s[26:27]
	v_add_f64 v[213:214], v[219:220], v[213:214]
	v_mul_f64 v[219:220], v[138:139], s[26:27]
	v_add_f64 v[211:212], v[219:220], -v[211:212]
	v_fma_f64 v[219:220], v[185:186], s[22:23], v[207:208]
	v_fma_f64 v[185:186], v[185:186], s[28:29], v[207:208]
	v_mul_f64 v[207:208], v[161:162], s[18:19]
	s_mov_b32 s23, 0x3fe82f19
	s_mov_b32 s22, s24
	v_fma_f64 v[247:248], v[173:174], s[22:23], v[207:208]
	v_fma_f64 v[173:174], v[173:174], s[24:25], v[207:208]
	v_mul_f64 v[207:208], v[136:137], s[4:5]
	v_fma_f64 v[251:252], v[140:141], s[20:21], v[207:208]
	v_fma_f64 v[140:141], v[140:141], s[30:31], v[207:208]
	v_mul_f64 v[207:208], v[136:137], s[14:15]
	v_add_f64 v[6:7], v[251:252], v[6:7]
	v_add_f64 v[4:5], v[140:141], v[4:5]
	;; [unrolled: 1-line block ×3, first 2 shown]
	v_mul_f64 v[245:246], v[94:95], s[14:15]
	v_add_f64 v[6:7], v[247:248], v[6:7]
	v_add_f64 v[4:5], v[173:174], v[4:5]
	;; [unrolled: 1-line block ×3, first 2 shown]
	v_add_f64 v[243:244], v[245:246], -v[243:244]
	v_mul_f64 v[245:246], v[136:137], s[26:27]
	v_mul_f64 v[136:137], v[136:137], s[18:19]
	v_add_f64 v[6:7], v[219:220], v[6:7]
	v_add_f64 v[4:5], v[185:186], v[4:5]
	;; [unrolled: 1-line block ×4, first 2 shown]
	v_mul_f64 v[245:246], v[94:95], s[26:27]
	v_add_f64 v[136:137], v[201:202], v[136:137]
	v_fma_f64 v[201:202], v[94:95], s[4:5], v[134:135]
	v_fma_f64 v[134:135], v[94:95], s[4:5], -v[134:135]
	v_mul_f64 v[94:95], v[94:95], s[18:19]
	v_add_f64 v[140:141], v[229:230], v[237:238]
	v_add_f64 v[225:226], v[245:246], -v[225:226]
	v_add_f64 v[136:137], v[136:137], v[249:250]
	v_add_f64 v[84:85], v[134:135], v[84:85]
	v_add_f64 v[94:95], v[94:95], -v[195:196]
	v_mul_f64 v[195:196], v[161:162], s[4:5]
	v_mul_f64 v[161:162], v[163:164], s[14:15]
	;; [unrolled: 1-line block ×4, first 2 shown]
	v_add_f64 v[118:119], v[118:119], v[140:141]
	v_add_f64 v[169:170], v[225:226], v[235:236]
	;; [unrolled: 1-line block ×6, first 2 shown]
	v_mul_f64 v[241:242], v[151:152], s[4:5]
	v_mul_f64 v[151:152], v[163:164], s[26:27]
	v_add_f64 v[163:164], v[201:202], v[215:216]
	v_mul_f64 v[120:121], v[147:148], s[16:17]
	v_add_f64 v[161:162], v[183:184], v[161:162]
	v_add_f64 v[134:135], v[134:135], -v[175:176]
	v_mul_f64 v[175:176], v[159:160], s[18:19]
	v_add_f64 v[142:143], v[209:210], v[142:143]
	v_add_f64 v[147:148], v[104:105], v[88:89]
	;; [unrolled: 1-line block ×7, first 2 shown]
	v_add_f64 v[239:240], v[241:242], -v[239:240]
	v_add_f64 v[151:152], v[231:232], v[151:152]
	v_add_f64 v[130:131], v[130:131], v[163:164]
	;; [unrolled: 1-line block ×3, first 2 shown]
	v_fma_f64 v[136:137], v[138:139], s[14:15], v[120:121]
	v_fma_f64 v[120:121], v[138:139], s[14:15], -v[120:121]
	v_mul_f64 v[138:139], v[138:139], s[4:5]
	v_add_f64 v[175:176], v[187:188], v[175:176]
	v_add_f64 v[126:127], v[161:162], v[110:111]
	v_lshrrev_b32_e32 v84, 4, v146
	v_add_f64 v[100:101], v[147:148], v[100:101]
	v_add_f64 v[128:129], v[128:129], v[106:107]
	;; [unrolled: 1-line block ×10, first 2 shown]
	v_add_f64 v[138:139], v[138:139], -v[167:168]
	v_add_f64 v[110:111], v[175:176], v[118:119]
	v_add_f64 v[118:119], v[116:117], v[126:127]
	v_mul_u32_u24_e32 v151, 0xb0, v84
	v_add_f64 v[92:93], v[120:121], v[122:123]
	v_add_f64 v[86:87], v[155:156], v[6:7]
	;; [unrolled: 1-line block ×5, first 2 shown]
	v_and_b32_e32 v0, 15, v146
	v_add_f64 v[90:91], v[213:214], v[130:131]
	v_add_f64 v[88:89], v[211:212], v[140:141]
	;; [unrolled: 1-line block ×5, first 2 shown]
	v_or_b32_e32 v0, v151, v0
	v_lshlrev_b32_e32 v0, 4, v0
	v_add_f64 v[104:105], v[149:150], v[132:133]
	ds_write_b128 v0, v[112:115] offset:1792
	ds_write_b128 v0, v[96:99] offset:2048
	;; [unrolled: 1-line block ×9, first 2 shown]
	ds_write_b128 v0, v[100:103]
	ds_write_b128 v0, v[76:79] offset:2560
.LBB0_23:
	s_or_b32 exec_lo, exec_lo, s1
	v_mad_u64_u32 v[0:1], null, 0x60, v146, s[2:3]
	s_waitcnt lgkmcnt(0)
	s_barrier
	buffer_gl0_inv
	s_mov_b32 s2, 0x37e14327
	s_mov_b32 s3, 0x3fe948f6
	;; [unrolled: 1-line block ×3, first 2 shown]
	v_add_co_u32 v4, s1, 0xae0, v0
	v_add_co_ci_u32_e64 v5, s1, 0, v1, s1
	v_add_co_u32 v6, s1, 0x800, v0
	v_add_co_ci_u32_e64 v7, s1, 0, v1, s1
	;; [unrolled: 2-line block ×3, first 2 shown]
	s_clause 0x5
	global_load_dwordx4 v[88:91], v[6:7], off offset:736
	global_load_dwordx4 v[84:87], v[4:5], off offset:16
	;; [unrolled: 1-line block ×6, first 2 shown]
	ds_read_b128 v[116:119], v2 offset:2816
	ds_read_b128 v[120:123], v2 offset:5632
	ds_read_b128 v[124:127], v2 offset:16896
	ds_read_b128 v[128:131], v2 offset:14080
	ds_read_b128 v[132:135], v2 offset:8448
	ds_read_b128 v[136:139], v2 offset:11264
	s_mov_b32 s12, 0xe976ee23
	s_mov_b32 s5, 0x3fac98ee
	;; [unrolled: 1-line block ×7, first 2 shown]
	s_waitcnt vmcnt(5) lgkmcnt(5)
	v_mul_f64 v[0:1], v[118:119], v[90:91]
	v_mul_f64 v[4:5], v[116:117], v[90:91]
	s_waitcnt vmcnt(4) lgkmcnt(4)
	v_mul_f64 v[6:7], v[122:123], v[86:87]
	v_mul_f64 v[140:141], v[120:121], v[86:87]
	;; [unrolled: 3-line block ×6, first 2 shown]
	v_fma_f64 v[0:1], v[116:117], v[88:89], -v[0:1]
	v_fma_f64 v[4:5], v[118:119], v[88:89], v[4:5]
	v_fma_f64 v[6:7], v[120:121], v[84:85], -v[6:7]
	v_fma_f64 v[116:117], v[122:123], v[84:85], v[140:141]
	;; [unrolled: 2-line block ×6, first 2 shown]
	v_add_f64 v[134:135], v[0:1], v[118:119]
	v_add_f64 v[136:137], v[4:5], v[120:121]
	v_add_f64 v[138:139], v[6:7], v[122:123]
	v_add_f64 v[140:141], v[116:117], v[124:125]
	v_add_f64 v[6:7], v[6:7], -v[122:123]
	v_add_f64 v[122:123], v[116:117], -v[124:125]
	v_add_f64 v[142:143], v[126:127], v[130:131]
	v_add_f64 v[144:145], v[128:129], v[132:133]
	v_add_f64 v[124:125], v[130:131], -v[126:127]
	v_add_f64 v[126:127], v[132:133], -v[128:129]
	;; [unrolled: 1-line block ×4, first 2 shown]
	ds_read_b128 v[116:119], v2
	v_add_f64 v[120:121], v[138:139], v[134:135]
	v_add_f64 v[128:129], v[140:141], v[136:137]
	v_add_f64 v[130:131], v[134:135], -v[142:143]
	v_add_f64 v[132:133], v[136:137], -v[144:145]
	;; [unrolled: 1-line block ×10, first 2 shown]
	v_add_f64 v[6:7], v[124:125], v[6:7]
	v_add_f64 v[138:139], v[126:127], v[122:123]
	v_add_f64 v[124:125], v[0:1], -v[124:125]
	v_add_f64 v[126:127], v[4:5], -v[126:127]
	v_add_f64 v[142:143], v[142:143], v[120:121]
	v_add_f64 v[128:129], v[144:145], v[128:129]
	v_mul_f64 v[130:131], v[130:131], s[2:3]
	v_mul_f64 v[132:133], v[132:133], s[2:3]
	s_mov_b32 s2, 0x429ad128
	v_mul_f64 v[140:141], v[147:148], s[4:5]
	v_mul_f64 v[144:145], v[149:150], s[4:5]
	;; [unrolled: 1-line block ×4, first 2 shown]
	s_mov_b32 s3, 0x3febfeb5
	s_mov_b32 s12, 0xaaaaaaaa
	v_mul_f64 v[159:160], v[155:156], s[2:3]
	v_mul_f64 v[161:162], v[157:158], s[2:3]
	s_mov_b32 s13, 0xbff2aaaa
	v_add_f64 v[4:5], v[138:139], v[4:5]
	v_add_f64 v[0:1], v[6:7], v[0:1]
	s_waitcnt lgkmcnt(0)
	v_add_f64 v[120:121], v[116:117], v[142:143]
	v_add_f64 v[122:123], v[118:119], v[128:129]
	v_fma_f64 v[6:7], v[147:148], s[4:5], v[130:131]
	v_fma_f64 v[116:117], v[149:150], s[4:5], v[132:133]
	v_fma_f64 v[118:119], v[134:135], s[14:15], -v[140:141]
	v_fma_f64 v[138:139], v[136:137], s[14:15], -v[144:145]
	s_mov_b32 s15, 0xbfe77f67
	v_fma_f64 v[140:141], v[124:125], s[16:17], v[151:152]
	v_fma_f64 v[144:145], v[126:127], s[16:17], v[153:154]
	s_mov_b32 s17, 0xbfd5d0dc
	v_fma_f64 v[147:148], v[155:156], s[2:3], -v[151:152]
	v_fma_f64 v[149:150], v[157:158], s[2:3], -v[153:154]
	;; [unrolled: 1-line block ×6, first 2 shown]
	s_mov_b32 s2, 0x37c3f68c
	s_mov_b32 s3, 0x3fdc38aa
	v_add_co_u32 v153, s1, 0x4800, v3
	v_fma_f64 v[142:143], v[142:143], s[12:13], v[120:121]
	v_fma_f64 v[128:129], v[128:129], s[12:13], v[122:123]
	v_add_co_ci_u32_e64 v154, s1, 0, v255, s1
	v_fma_f64 v[151:152], v[0:1], s[2:3], v[140:141]
	v_fma_f64 v[144:145], v[4:5], s[2:3], v[144:145]
	;; [unrolled: 1-line block ×6, first 2 shown]
	v_add_f64 v[6:7], v[6:7], v[142:143]
	v_add_f64 v[147:148], v[116:117], v[128:129]
	;; [unrolled: 1-line block ×7, first 2 shown]
	v_add_f64 v[126:127], v[147:148], -v[151:152]
	v_add_f64 v[128:129], v[4:5], v[116:117]
	v_add_f64 v[130:131], v[149:150], -v[0:1]
	v_add_f64 v[132:133], v[118:119], -v[136:137]
	v_add_f64 v[134:135], v[140:141], v[138:139]
	v_add_f64 v[136:137], v[136:137], v[118:119]
	v_add_f64 v[138:139], v[138:139], -v[140:141]
	v_add_f64 v[140:141], v[116:117], -v[4:5]
	v_add_f64 v[142:143], v[0:1], v[149:150]
	v_add_f64 v[116:117], v[6:7], -v[144:145]
	v_add_f64 v[118:119], v[151:152], v[147:148]
	v_add_co_u32 v0, s1, 0x7000, v3
	v_add_co_ci_u32_e64 v1, s1, 0, v255, s1
	v_add_co_u32 v4, s1, 0x5800, v3
	v_add_co_ci_u32_e64 v5, s1, 0, v255, s1
	v_add_co_u32 v6, s1, 0x7800, v3
	v_add_co_ci_u32_e64 v7, s1, 0, v255, s1
	v_add_co_u32 v144, s1, 0x6000, v3
	v_add_co_ci_u32_e64 v145, s1, 0, v255, s1
	ds_write_b128 v2, v[120:123]
	ds_write_b128 v2, v[124:127] offset:2816
	ds_write_b128 v2, v[128:131] offset:5632
	;; [unrolled: 1-line block ×6, first 2 shown]
	s_waitcnt lgkmcnt(0)
	s_barrier
	buffer_gl0_inv
	s_clause 0x2
	global_load_dwordx4 v[120:123], v[153:154], off offset:1280
	global_load_dwordx4 v[124:127], v[0:1], off offset:896
	global_load_dwordx4 v[128:131], v[4:5], off
	v_add_co_u32 v0, s1, 0x8800, v3
	v_add_co_ci_u32_e64 v1, s1, 0, v255, s1
	s_clause 0x2
	global_load_dwordx4 v[132:135], v[6:7], off offset:1664
	global_load_dwordx4 v[136:139], v[144:145], off offset:768
	;; [unrolled: 1-line block ×3, first 2 shown]
	ds_read_b128 v[147:150], v2
	ds_read_b128 v[151:154], v2 offset:9856
	ds_read_b128 v[155:158], v2 offset:2816
	;; [unrolled: 1-line block ×5, first 2 shown]
	s_waitcnt vmcnt(5) lgkmcnt(5)
	v_mul_f64 v[0:1], v[149:150], v[122:123]
	v_mul_f64 v[4:5], v[147:148], v[122:123]
	s_waitcnt vmcnt(4) lgkmcnt(4)
	v_mul_f64 v[6:7], v[153:154], v[126:127]
	v_mul_f64 v[122:123], v[151:152], v[126:127]
	;; [unrolled: 3-line block ×6, first 2 shown]
	v_fma_f64 v[142:143], v[147:148], v[120:121], -v[0:1]
	v_fma_f64 v[144:145], v[149:150], v[120:121], v[4:5]
	v_fma_f64 v[120:121], v[151:152], v[124:125], -v[6:7]
	v_fma_f64 v[122:123], v[153:154], v[124:125], v[122:123]
	;; [unrolled: 2-line block ×6, first 2 shown]
	ds_write_b128 v2, v[142:145]
	ds_write_b128 v2, v[120:123] offset:9856
	ds_write_b128 v2, v[124:127] offset:2816
	;; [unrolled: 1-line block ×5, first 2 shown]
	s_and_saveexec_b32 s2, vcc_lo
	s_cbranch_execz .LBB0_25
; %bb.24:
	v_add_co_u32 v4, s1, 0x4d00, v3
	v_add_co_ci_u32_e64 v5, s1, 0, v255, s1
	v_add_co_u32 v0, s1, 0x2000, v4
	v_add_co_ci_u32_e64 v1, s1, 0, v5, s1
	;; [unrolled: 2-line block ×3, first 2 shown]
	s_clause 0x1
	global_load_dwordx4 v[120:123], v[0:1], off offset:256
	global_load_dwordx4 v[124:127], v[4:5], off offset:1920
	ds_read_b128 v[128:131], v2 offset:8448
	ds_read_b128 v[132:135], v2 offset:18304
	s_waitcnt vmcnt(1) lgkmcnt(1)
	v_mul_f64 v[0:1], v[130:131], v[122:123]
	v_mul_f64 v[4:5], v[128:129], v[122:123]
	s_waitcnt vmcnt(0) lgkmcnt(0)
	v_mul_f64 v[6:7], v[134:135], v[126:127]
	v_mul_f64 v[122:123], v[132:133], v[126:127]
	v_fma_f64 v[126:127], v[128:129], v[120:121], -v[0:1]
	v_fma_f64 v[128:129], v[130:131], v[120:121], v[4:5]
	v_fma_f64 v[120:121], v[132:133], v[124:125], -v[6:7]
	v_fma_f64 v[122:123], v[134:135], v[124:125], v[122:123]
	ds_write_b128 v2, v[126:129] offset:8448
	ds_write_b128 v2, v[120:123] offset:18304
.LBB0_25:
	s_or_b32 exec_lo, exec_lo, s2
	s_waitcnt lgkmcnt(0)
	s_barrier
	buffer_gl0_inv
	ds_read_b128 v[124:127], v2
	ds_read_b128 v[128:131], v2 offset:2816
	ds_read_b128 v[140:143], v2 offset:9856
	;; [unrolled: 1-line block ×5, first 2 shown]
	s_and_saveexec_b32 s1, vcc_lo
	s_cbranch_execz .LBB0_27
; %bb.26:
	ds_read_b128 v[116:119], v2 offset:8448
	ds_read_b128 v[112:115], v2 offset:18304
.LBB0_27:
	s_or_b32 exec_lo, exec_lo, s1
	s_waitcnt lgkmcnt(3)
	v_add_f64 v[140:141], v[124:125], -v[140:141]
	v_add_f64 v[142:143], v[126:127], -v[142:143]
	v_lshlrev_b32_e32 v0, 5, v146
	s_waitcnt lgkmcnt(0)
	s_barrier
	buffer_gl0_inv
	v_add_f64 v[136:137], v[128:129], -v[136:137]
	v_add_f64 v[138:139], v[130:131], -v[138:139]
	;; [unrolled: 1-line block ×6, first 2 shown]
	v_fma_f64 v[124:125], v[124:125], 2.0, -v[140:141]
	v_fma_f64 v[126:127], v[126:127], 2.0, -v[142:143]
	ds_write_b128 v0, v[140:143] offset:16
	ds_write_b128 v0, v[124:127]
	buffer_load_dword v0, off, s[40:43], 0 offset:56 ; 4-byte Folded Reload
	v_fma_f64 v[128:129], v[128:129], 2.0, -v[136:137]
	v_fma_f64 v[130:131], v[130:131], 2.0, -v[138:139]
	;; [unrolled: 1-line block ×6, first 2 shown]
	s_waitcnt vmcnt(0)
	ds_write_b128 v0, v[128:131]
	ds_write_b128 v0, v[136:139] offset:16
	buffer_load_dword v0, off, s[40:43], 0 offset:52 ; 4-byte Folded Reload
	s_waitcnt vmcnt(0)
	ds_write_b128 v0, v[132:135]
	ds_write_b128 v0, v[147:150] offset:16
	s_and_saveexec_b32 s1, vcc_lo
	s_cbranch_execz .LBB0_29
; %bb.28:
	buffer_load_dword v0, off, s[40:43], 0 offset:96 ; 4-byte Folded Reload
	s_waitcnt vmcnt(0)
	ds_write_b128 v0, v[112:115]
	ds_write_b128 v0, v[120:123] offset:16
.LBB0_29:
	s_or_b32 exec_lo, exec_lo, s1
	s_waitcnt lgkmcnt(0)
	s_barrier
	buffer_gl0_inv
	ds_read_b128 v[124:127], v2
	ds_read_b128 v[128:131], v2 offset:2816
	ds_read_b128 v[116:119], v2 offset:9856
	;; [unrolled: 1-line block ×5, first 2 shown]
	s_and_saveexec_b32 s1, vcc_lo
	s_cbranch_execz .LBB0_31
; %bb.30:
	ds_read_b128 v[112:115], v2 offset:8448
	ds_read_b128 v[120:123], v2 offset:18304
.LBB0_31:
	s_or_b32 exec_lo, exec_lo, s1
	s_waitcnt lgkmcnt(3)
	v_mul_f64 v[0:1], v[30:31], v[118:119]
	s_waitcnt lgkmcnt(1)
	v_mul_f64 v[144:145], v[30:31], v[140:141]
	;; [unrolled: 2-line block ×3, first 2 shown]
	v_mul_f64 v[4:5], v[30:31], v[116:117]
	v_mul_f64 v[6:7], v[30:31], v[142:143]
	;; [unrolled: 1-line block ×5, first 2 shown]
	s_barrier
	buffer_gl0_inv
	v_fma_f64 v[0:1], v[28:29], v[116:117], v[0:1]
	v_fma_f64 v[116:117], v[28:29], v[142:143], -v[144:145]
	v_fma_f64 v[144:145], v[28:29], v[120:121], v[151:152]
	v_fma_f64 v[4:5], v[28:29], v[118:119], -v[4:5]
	v_fma_f64 v[6:7], v[28:29], v[140:141], v[6:7]
	v_fma_f64 v[118:119], v[28:29], v[136:137], v[147:148]
	v_fma_f64 v[142:143], v[28:29], v[138:139], -v[149:150]
	v_fma_f64 v[28:29], v[28:29], v[122:123], -v[30:31]
	v_add_f64 v[120:121], v[124:125], -v[0:1]
	buffer_load_dword v0, off, s[40:43], 0 offset:68 ; 4-byte Folded Reload
	v_add_f64 v[138:139], v[130:131], -v[116:117]
	v_add_f64 v[122:123], v[126:127], -v[4:5]
	;; [unrolled: 1-line block ×7, first 2 shown]
	v_fma_f64 v[124:125], v[124:125], 2.0, -v[120:121]
	v_fma_f64 v[130:131], v[130:131], 2.0, -v[138:139]
	;; [unrolled: 1-line block ×8, first 2 shown]
	s_waitcnt vmcnt(0)
	ds_write_b128 v0, v[120:123] offset:32
	ds_write_b128 v0, v[124:127]
	buffer_load_dword v0, off, s[40:43], 0 offset:64 ; 4-byte Folded Reload
	s_waitcnt vmcnt(0)
	ds_write_b128 v0, v[128:131]
	ds_write_b128 v0, v[136:139] offset:32
	buffer_load_dword v0, off, s[40:43], 0 offset:60 ; 4-byte Folded Reload
	s_waitcnt vmcnt(0)
	ds_write_b128 v0, v[132:135]
	ds_write_b128 v0, v[140:143] offset:32
	s_and_saveexec_b32 s1, vcc_lo
	s_cbranch_execz .LBB0_33
; %bb.32:
	buffer_load_dword v0, off, s[40:43], 0  ; 4-byte Folded Reload
	v_and_b32_e32 v1, 1, v146
	s_waitcnt vmcnt(0)
	v_and_or_b32 v0, 0x5fc, v0, v1
	v_lshlrev_b32_e32 v0, 4, v0
	ds_write_b128 v0, v[28:31]
	ds_write_b128 v0, v[116:119] offset:32
.LBB0_33:
	s_or_b32 exec_lo, exec_lo, s1
	s_waitcnt lgkmcnt(0)
	s_barrier
	buffer_gl0_inv
	ds_read_b128 v[112:115], v2
	ds_read_b128 v[120:123], v2 offset:2816
	ds_read_b128 v[128:131], v2 offset:9856
	;; [unrolled: 1-line block ×5, first 2 shown]
	s_and_saveexec_b32 s1, vcc_lo
	s_cbranch_execz .LBB0_35
; %bb.34:
	ds_read_b128 v[28:31], v2 offset:8448
	ds_read_b128 v[116:119], v2 offset:18304
.LBB0_35:
	s_or_b32 exec_lo, exec_lo, s1
	s_waitcnt lgkmcnt(3)
	v_mul_f64 v[0:1], v[34:35], v[130:131]
	s_waitcnt lgkmcnt(1)
	v_mul_f64 v[140:141], v[34:35], v[136:137]
	;; [unrolled: 2-line block ×3, first 2 shown]
	v_mul_f64 v[4:5], v[34:35], v[128:129]
	v_mul_f64 v[6:7], v[34:35], v[138:139]
	v_mul_f64 v[142:143], v[34:35], v[134:135]
	v_mul_f64 v[144:145], v[34:35], v[132:133]
	v_mul_f64 v[34:35], v[34:35], v[116:117]
	s_barrier
	buffer_gl0_inv
	v_fma_f64 v[0:1], v[32:33], v[128:129], v[0:1]
	v_fma_f64 v[128:129], v[32:33], v[138:139], -v[140:141]
	v_fma_f64 v[140:141], v[32:33], v[116:117], v[147:148]
	v_fma_f64 v[4:5], v[32:33], v[130:131], -v[4:5]
	v_fma_f64 v[6:7], v[32:33], v[136:137], v[6:7]
	v_fma_f64 v[130:131], v[32:33], v[132:133], v[142:143]
	v_fma_f64 v[138:139], v[32:33], v[134:135], -v[144:145]
	v_fma_f64 v[34:35], v[32:33], v[118:119], -v[34:35]
	v_add_f64 v[116:117], v[112:113], -v[0:1]
	buffer_load_dword v0, off, s[40:43], 0 offset:80 ; 4-byte Folded Reload
	v_add_f64 v[134:135], v[122:123], -v[128:129]
	v_add_f64 v[118:119], v[114:115], -v[4:5]
	;; [unrolled: 1-line block ×7, first 2 shown]
	v_fma_f64 v[112:113], v[112:113], 2.0, -v[116:117]
	v_fma_f64 v[122:123], v[122:123], 2.0, -v[134:135]
	;; [unrolled: 1-line block ×8, first 2 shown]
	s_waitcnt vmcnt(0)
	ds_write_b128 v0, v[116:119] offset:64
	ds_write_b128 v0, v[112:115]
	buffer_load_dword v0, off, s[40:43], 0 offset:76 ; 4-byte Folded Reload
	s_waitcnt vmcnt(0)
	ds_write_b128 v0, v[120:123]
	ds_write_b128 v0, v[132:135] offset:64
	buffer_load_dword v0, off, s[40:43], 0 offset:72 ; 4-byte Folded Reload
	s_waitcnt vmcnt(0)
	ds_write_b128 v0, v[124:127]
	ds_write_b128 v0, v[136:139] offset:64
	s_and_saveexec_b32 s1, vcc_lo
	s_cbranch_execz .LBB0_37
; %bb.36:
	buffer_load_dword v0, off, s[40:43], 0  ; 4-byte Folded Reload
	v_and_b32_e32 v1, 3, v146
	s_waitcnt vmcnt(0)
	v_and_or_b32 v0, 0x5f8, v0, v1
	v_lshlrev_b32_e32 v0, 4, v0
	ds_write_b128 v0, v[128:131]
	ds_write_b128 v0, v[32:35] offset:64
.LBB0_37:
	s_or_b32 exec_lo, exec_lo, s1
	s_waitcnt lgkmcnt(0)
	s_barrier
	buffer_gl0_inv
	ds_read_b128 v[28:31], v2
	ds_read_b128 v[112:115], v2 offset:2816
	ds_read_b128 v[116:119], v2 offset:9856
	ds_read_b128 v[120:123], v2 offset:5632
	ds_read_b128 v[132:135], v2 offset:12672
	ds_read_b128 v[124:127], v2 offset:15488
	s_and_saveexec_b32 s1, vcc_lo
	s_cbranch_execz .LBB0_39
; %bb.38:
	ds_read_b128 v[128:131], v2 offset:8448
	ds_read_b128 v[32:35], v2 offset:18304
.LBB0_39:
	s_or_b32 exec_lo, exec_lo, s1
	s_waitcnt lgkmcnt(3)
	v_mul_f64 v[0:1], v[38:39], v[118:119]
	v_mul_f64 v[4:5], v[38:39], v[116:117]
	s_waitcnt lgkmcnt(0)
	v_mul_f64 v[138:139], v[38:39], v[126:127]
	v_mul_f64 v[140:141], v[38:39], v[124:125]
	;; [unrolled: 1-line block ×6, first 2 shown]
	s_barrier
	buffer_gl0_inv
	v_fma_f64 v[0:1], v[36:37], v[116:117], v[0:1]
	v_fma_f64 v[4:5], v[36:37], v[118:119], -v[4:5]
	v_fma_f64 v[118:119], v[36:37], v[124:125], v[138:139]
	v_fma_f64 v[124:125], v[36:37], v[126:127], -v[140:141]
	v_fma_f64 v[126:127], v[36:37], v[32:33], v[142:143]
	v_fma_f64 v[6:7], v[36:37], v[132:133], v[6:7]
	v_fma_f64 v[116:117], v[36:37], v[134:135], -v[136:137]
	v_fma_f64 v[132:133], v[36:37], v[34:35], -v[38:39]
	v_add_f64 v[32:33], v[28:29], -v[0:1]
	buffer_load_dword v0, off, s[40:43], 0 offset:92 ; 4-byte Folded Reload
	v_add_f64 v[34:35], v[30:31], -v[4:5]
	v_add_f64 v[36:37], v[112:113], -v[6:7]
	;; [unrolled: 1-line block ×7, first 2 shown]
	v_fma_f64 v[28:29], v[28:29], 2.0, -v[32:33]
	v_fma_f64 v[30:31], v[30:31], 2.0, -v[34:35]
	s_waitcnt vmcnt(0)
	ds_write_b128 v0, v[32:35] offset:128
	ds_write_b128 v0, v[28:31]
	buffer_load_dword v0, off, s[40:43], 0 offset:88 ; 4-byte Folded Reload
	v_fma_f64 v[112:113], v[112:113], 2.0, -v[36:37]
	v_fma_f64 v[114:115], v[114:115], 2.0, -v[38:39]
	;; [unrolled: 1-line block ×6, first 2 shown]
	s_waitcnt vmcnt(0)
	ds_write_b128 v0, v[112:115]
	ds_write_b128 v0, v[36:39] offset:128
	buffer_load_dword v0, off, s[40:43], 0 offset:84 ; 4-byte Folded Reload
	s_waitcnt vmcnt(0)
	ds_write_b128 v0, v[120:123]
	ds_write_b128 v0, v[116:119] offset:128
	s_and_saveexec_b32 s1, vcc_lo
	s_cbranch_execz .LBB0_41
; %bb.40:
	buffer_load_dword v0, off, s[40:43], 0  ; 4-byte Folded Reload
	v_and_b32_e32 v1, 7, v146
	s_waitcnt vmcnt(0)
	v_and_or_b32 v0, 0x5f0, v0, v1
	v_lshlrev_b32_e32 v0, 4, v0
	ds_write_b128 v0, v[128:131]
	ds_write_b128 v0, v[124:127] offset:128
.LBB0_41:
	s_or_b32 exec_lo, exec_lo, s1
	s_waitcnt lgkmcnt(0)
	s_barrier
	buffer_gl0_inv
	s_and_saveexec_b32 s1, s0
	s_cbranch_execz .LBB0_43
; %bb.42:
	ds_read_b128 v[28:31], v2
	ds_read_b128 v[32:35], v2 offset:1792
	ds_read_b128 v[112:115], v2 offset:3584
	;; [unrolled: 1-line block ×10, first 2 shown]
.LBB0_43:
	s_or_b32 exec_lo, exec_lo, s1
	s_waitcnt lgkmcnt(0)
	s_barrier
	buffer_gl0_inv
	s_and_saveexec_b32 s33, s0
	s_cbranch_execz .LBB0_45
; %bb.44:
	v_mul_f64 v[0:1], v[26:27], v[34:35]
	v_mul_f64 v[4:5], v[50:51], v[78:79]
	;; [unrolled: 1-line block ×16, first 2 shown]
	s_mov_b32 s22, 0xfd768dbf
	s_mov_b32 s23, 0xbfd207e7
	v_mul_f64 v[149:150], v[46:47], v[36:37]
	s_mov_b32 s14, 0xf8bb580b
	s_mov_b32 s4, 0x9bcd5057
	s_mov_b32 s18, 0xbb3a28a1
	v_fma_f64 v[0:1], v[24:25], v[32:33], v[0:1]
	v_fma_f64 v[26:27], v[48:49], v[76:77], v[4:5]
	v_mul_f64 v[4:5], v[46:47], v[38:39]
	v_mul_f64 v[76:77], v[74:75], v[98:99]
	v_fma_f64 v[54:55], v[60:61], v[116:117], v[6:7]
	v_fma_f64 v[6:7], v[40:41], v[112:113], v[140:141]
	;; [unrolled: 1-line block ×3, first 2 shown]
	v_fma_f64 v[80:81], v[24:25], v[34:35], -v[144:145]
	v_fma_f64 v[24:25], v[48:49], v[78:79], -v[147:148]
	;; [unrolled: 1-line block ×3, first 2 shown]
	v_mul_f64 v[74:75], v[74:75], v[96:97]
	v_fma_f64 v[48:49], v[64:65], v[130:131], -v[66:67]
	v_fma_f64 v[42:43], v[68:69], v[124:125], v[136:137]
	v_fma_f64 v[46:47], v[68:69], v[126:127], -v[70:71]
	v_fma_f64 v[40:41], v[40:41], v[114:115], -v[151:152]
	;; [unrolled: 1-line block ×3, first 2 shown]
	s_mov_b32 s15, 0x3fe14ced
	s_mov_b32 s5, 0xbfeeb42a
	;; [unrolled: 1-line block ×3, first 2 shown]
	v_fma_f64 v[50:51], v[64:65], v[128:129], v[132:133]
	v_fma_f64 v[64:65], v[52:53], v[120:121], v[134:135]
	v_fma_f64 v[52:53], v[52:53], v[122:123], -v[138:139]
	s_mov_b32 s16, 0x43842ef
	v_add_f64 v[62:63], v[0:1], -v[26:27]
	v_fma_f64 v[4:5], v[44:45], v[36:37], v[4:5]
	v_fma_f64 v[36:37], v[72:73], v[96:97], v[76:77]
	v_fma_f64 v[44:45], v[44:45], v[38:39], -v[149:150]
	v_add_f64 v[120:121], v[0:1], v[26:27]
	v_add_f64 v[56:57], v[6:7], -v[32:33]
	s_mov_b32 s12, 0x8764f0ba
	v_add_f64 v[58:59], v[80:81], -v[24:25]
	v_add_f64 v[66:67], v[80:81], v[24:25]
	v_fma_f64 v[38:39], v[72:73], v[98:99], -v[74:75]
	s_mov_b32 s17, 0xbfefac9e
	s_mov_b32 s2, 0x7f775887
	;; [unrolled: 1-line block ×4, first 2 shown]
	v_add_f64 v[96:97], v[40:41], -v[34:35]
	v_add_f64 v[116:117], v[40:41], v[34:35]
	s_mov_b32 s27, 0x3fefac9e
	s_mov_b32 s26, s16
	v_add_f64 v[132:133], v[6:7], v[32:33]
	v_add_f64 v[72:73], v[64:65], -v[42:43]
	s_mov_b32 s0, 0x640f44db
	s_mov_b32 s1, 0xbfc2375f
	v_mul_f64 v[68:69], v[62:63], s[22:23]
	v_mul_f64 v[142:143], v[62:63], s[18:19]
	v_add_f64 v[74:75], v[4:5], -v[36:37]
	v_mul_f64 v[177:178], v[62:63], s[16:17]
	s_mov_b32 s25, 0x3fed1bb4
	v_mul_f64 v[122:123], v[56:57], s[14:15]
	v_mul_f64 v[159:160], v[56:57], s[26:27]
	v_mul_f64 v[124:125], v[58:59], s[22:23]
	v_mul_f64 v[157:158], v[58:59], s[18:19]
	v_add_f64 v[82:83], v[44:45], -v[38:39]
	v_add_f64 v[114:115], v[44:45], v[38:39]
	v_mul_f64 v[189:190], v[58:59], s[16:17]
	s_mov_b32 s24, 0x8eee2c13
	s_mov_b32 s31, 0x3fd207e7
	v_mul_f64 v[149:150], v[96:97], s[14:15]
	s_mov_b32 s30, s22
	s_mov_b32 s29, 0xbfe14ced
	s_mov_b32 s28, s14
	v_add_f64 v[70:71], v[54:55], -v[50:51]
	v_add_f64 v[78:79], v[52:53], -v[46:47]
	v_add_f64 v[112:113], v[52:53], v[46:47]
	v_add_f64 v[128:129], v[4:5], v[36:37]
	v_fma_f64 v[130:131], v[66:67], s[4:5], v[68:69]
	v_fma_f64 v[68:69], v[66:67], s[4:5], -v[68:69]
	v_mul_f64 v[138:139], v[74:75], s[18:19]
	v_fma_f64 v[181:182], v[66:67], s[2:3], v[142:143]
	v_add_f64 v[80:81], v[30:31], v[80:81]
	v_fma_f64 v[163:164], v[116:117], s[12:13], v[122:123]
	v_add_f64 v[0:1], v[28:29], v[0:1]
	v_fma_f64 v[165:166], v[120:121], s[4:5], -v[124:125]
	v_fma_f64 v[124:125], v[120:121], s[4:5], v[124:125]
	v_mul_f64 v[136:137], v[72:73], s[24:25]
	v_mul_f64 v[147:148], v[82:83], s[18:19]
	;; [unrolled: 1-line block ×4, first 2 shown]
	v_fma_f64 v[195:196], v[120:121], s[2:3], -v[157:158]
	v_fma_f64 v[193:194], v[132:133], s[12:13], -v[149:150]
	;; [unrolled: 1-line block ×3, first 2 shown]
	v_fma_f64 v[149:150], v[132:133], s[12:13], v[149:150]
	v_fma_f64 v[142:143], v[66:67], s[2:3], -v[142:143]
	v_fma_f64 v[157:158], v[120:121], s[2:3], v[157:158]
	v_mul_f64 v[155:156], v[74:75], s[28:29]
	v_mul_f64 v[187:188], v[96:97], s[30:31]
	v_fma_f64 v[197:198], v[116:117], s[0:1], v[159:160]
	v_add_f64 v[130:131], v[30:31], v[130:131]
	v_add_f64 v[68:69], v[30:31], v[68:69]
	v_fma_f64 v[191:192], v[114:115], s[2:3], v[138:139]
	v_add_f64 v[181:182], v[30:31], v[181:182]
	v_fma_f64 v[203:204], v[120:121], s[0:1], -v[189:190]
	s_mov_b32 s20, 0xd9c712b6
	s_mov_b32 s21, 0x3fda9628
	v_add_f64 v[165:166], v[28:29], v[165:166]
	v_add_f64 v[124:125], v[28:29], v[124:125]
	;; [unrolled: 1-line block ×4, first 2 shown]
	v_mul_f64 v[134:135], v[70:71], s[16:17]
	v_mul_f64 v[144:145], v[78:79], s[24:25]
	;; [unrolled: 1-line block ×4, first 2 shown]
	v_add_f64 v[40:41], v[80:81], v[40:41]
	v_add_f64 v[0:1], v[0:1], v[6:7]
	v_fma_f64 v[80:81], v[112:113], s[20:21], v[136:137]
	v_fma_f64 v[201:202], v[128:129], s[2:3], -v[147:148]
	v_fma_f64 v[138:139], v[114:115], s[2:3], -v[138:139]
	v_fma_f64 v[147:148], v[128:129], s[2:3], v[147:148]
	v_fma_f64 v[205:206], v[132:133], s[0:1], -v[171:172]
	v_add_f64 v[130:131], v[163:164], v[130:131]
	v_fma_f64 v[163:164], v[66:67], s[0:1], v[177:178]
	v_fma_f64 v[159:160], v[116:117], s[0:1], -v[159:160]
	v_fma_f64 v[171:172], v[132:133], s[0:1], v[171:172]
	v_add_f64 v[142:143], v[30:31], v[142:143]
	v_add_f64 v[68:69], v[122:123], v[68:69]
	v_mul_f64 v[185:186], v[82:83], s[24:25]
	v_add_f64 v[165:166], v[193:194], v[165:166]
	v_add_f64 v[122:123], v[149:150], v[124:125]
	v_add_f64 v[181:182], v[197:198], v[181:182]
	v_fma_f64 v[193:194], v[132:133], s[4:5], -v[187:188]
	v_add_f64 v[197:198], v[28:29], v[203:204]
	v_add_f64 v[76:77], v[60:61], -v[48:49]
	v_mul_f64 v[153:154], v[72:73], s[22:23]
	v_mul_f64 v[167:168], v[78:79], s[22:23]
	;; [unrolled: 1-line block ×3, first 2 shown]
	v_fma_f64 v[6:7], v[98:99], s[0:1], v[134:135]
	v_fma_f64 v[149:150], v[126:127], s[20:21], -v[144:145]
	v_fma_f64 v[136:137], v[112:113], s[20:21], -v[136:137]
	v_fma_f64 v[144:145], v[126:127], s[20:21], v[144:145]
	v_fma_f64 v[203:204], v[128:129], s[12:13], -v[169:170]
	v_fma_f64 v[169:170], v[128:129], s[12:13], v[169:170]
	v_add_f64 v[124:125], v[191:192], v[130:131]
	v_add_f64 v[130:131], v[28:29], v[157:158]
	v_fma_f64 v[157:158], v[116:117], s[4:5], v[179:180]
	v_add_f64 v[163:164], v[30:31], v[163:164]
	v_fma_f64 v[191:192], v[114:115], s[12:13], v[155:156]
	v_fma_f64 v[155:156], v[114:115], s[12:13], -v[155:156]
	v_add_f64 v[142:143], v[159:160], v[142:143]
	v_add_f64 v[159:160], v[201:202], v[165:166]
	;; [unrolled: 1-line block ×4, first 2 shown]
	v_fma_f64 v[147:148], v[120:121], s[0:1], v[189:190]
	v_fma_f64 v[165:166], v[114:115], s[20:21], v[175:176]
	v_add_f64 v[44:45], v[40:41], v[44:45]
	v_add_f64 v[0:1], v[0:1], v[4:5]
	v_mul_f64 v[183:184], v[78:79], s[28:29]
	v_add_f64 v[189:190], v[193:194], v[197:198]
	v_mul_f64 v[151:152], v[70:71], s[24:25]
	v_mul_f64 v[161:162], v[76:77], s[24:25]
	s_mov_b32 s25, 0xbfed1bb4
	v_add_f64 v[118:119], v[54:55], v[50:51]
	v_fma_f64 v[138:139], v[112:113], s[4:5], v[153:154]
	v_fma_f64 v[153:154], v[112:113], s[4:5], -v[153:154]
	v_add_f64 v[80:81], v[80:81], v[124:125]
	v_add_f64 v[124:125], v[171:172], v[130:131]
	v_fma_f64 v[177:178], v[66:67], s[0:1], -v[177:178]
	v_add_f64 v[157:158], v[157:158], v[163:164]
	v_add_f64 v[171:172], v[191:192], v[181:182]
	v_fma_f64 v[181:182], v[128:129], s[20:21], -v[185:186]
	v_fma_f64 v[163:164], v[126:127], s[4:5], -v[167:168]
	v_fma_f64 v[167:168], v[126:127], s[4:5], v[167:168]
	v_add_f64 v[142:143], v[155:156], v[142:143]
	v_add_f64 v[68:69], v[136:137], v[68:69]
	;; [unrolled: 1-line block ×4, first 2 shown]
	v_fma_f64 v[144:145], v[112:113], s[12:13], v[173:174]
	v_mul_f64 v[155:156], v[62:63], s[24:25]
	v_add_f64 v[44:45], v[44:45], v[52:53]
	v_add_f64 v[0:1], v[0:1], v[64:65]
	;; [unrolled: 1-line block ×3, first 2 shown]
	v_fma_f64 v[159:160], v[126:127], s[12:13], -v[183:184]
	v_mul_f64 v[62:63], v[62:63], s[28:29]
	v_mul_f64 v[52:53], v[58:59], s[28:29]
	;; [unrolled: 1-line block ×3, first 2 shown]
	v_fma_f64 v[179:180], v[116:117], s[4:5], -v[179:180]
	v_add_f64 v[40:41], v[6:7], v[80:81]
	v_add_f64 v[6:7], v[169:170], v[124:125]
	v_fma_f64 v[124:125], v[132:133], s[4:5], v[187:188]
	v_add_f64 v[147:148], v[165:166], v[157:158]
	v_fma_f64 v[169:170], v[118:119], s[20:21], -v[161:162]
	v_add_f64 v[165:166], v[181:182], v[189:190]
	v_add_f64 v[4:5], v[30:31], v[177:178]
	;; [unrolled: 1-line block ×4, first 2 shown]
	v_fma_f64 v[153:154], v[118:119], s[20:21], v[161:162]
	v_fma_f64 v[161:162], v[128:129], s[20:21], v[185:186]
	v_mul_f64 v[171:172], v[96:97], s[18:19]
	v_mul_f64 v[96:97], v[96:97], s[24:25]
	v_add_f64 v[195:196], v[28:29], v[195:196]
	v_add_f64 v[44:45], v[44:45], v[60:61]
	;; [unrolled: 1-line block ×3, first 2 shown]
	v_fma_f64 v[130:131], v[98:99], s[20:21], v[151:152]
	v_fma_f64 v[64:65], v[98:99], s[20:21], -v[151:152]
	v_fma_f64 v[151:152], v[114:115], s[20:21], -v[175:176]
	v_fma_f64 v[54:55], v[120:121], s[12:13], v[52:53]
	v_fma_f64 v[60:61], v[120:121], s[20:21], v[58:59]
	v_fma_f64 v[58:59], v[120:121], s[20:21], -v[58:59]
	v_fma_f64 v[52:53], v[120:121], s[12:13], -v[52:53]
	v_add_f64 v[6:7], v[167:168], v[6:7]
	v_add_f64 v[124:125], v[124:125], v[136:137]
	;; [unrolled: 1-line block ×3, first 2 shown]
	v_mul_f64 v[147:148], v[56:57], s[18:19]
	v_fma_f64 v[167:168], v[66:67], s[20:21], -v[155:156]
	v_add_f64 v[159:160], v[159:160], v[165:166]
	v_mul_f64 v[56:57], v[56:57], s[24:25]
	v_fma_f64 v[165:166], v[66:67], s[12:13], -v[62:63]
	v_fma_f64 v[155:156], v[66:67], s[20:21], v[155:156]
	v_fma_f64 v[62:63], v[66:67], s[12:13], v[62:63]
	v_mul_f64 v[120:121], v[74:75], s[30:31]
	v_add_f64 v[4:5], v[179:180], v[4:5]
	v_mul_f64 v[74:75], v[74:75], s[16:17]
	v_add_f64 v[44:45], v[44:45], v[48:49]
	v_add_f64 v[0:1], v[0:1], v[50:51]
	v_fma_f64 v[181:182], v[132:133], s[20:21], v[96:97]
	v_fma_f64 v[177:178], v[132:133], s[2:3], v[171:172]
	v_add_f64 v[195:196], v[205:206], v[195:196]
	v_add_f64 v[48:49], v[28:29], v[54:55]
	;; [unrolled: 1-line block ×5, first 2 shown]
	v_mul_f64 v[52:53], v[72:73], s[26:27]
	v_add_f64 v[66:67], v[161:162], v[124:125]
	v_mul_f64 v[124:125], v[82:83], s[30:31]
	v_fma_f64 v[161:162], v[116:117], s[2:3], -v[147:148]
	v_add_f64 v[167:168], v[30:31], v[167:168]
	v_mul_f64 v[82:83], v[82:83], s[16:17]
	v_fma_f64 v[179:180], v[116:117], s[20:21], -v[56:57]
	v_add_f64 v[165:166], v[30:31], v[165:166]
	v_fma_f64 v[54:55], v[116:117], s[2:3], v[147:148]
	v_add_f64 v[60:61], v[30:31], v[155:156]
	v_fma_f64 v[147:148], v[132:133], s[2:3], -v[171:172]
	v_fma_f64 v[56:57], v[116:117], s[20:21], v[56:57]
	v_add_f64 v[30:31], v[30:31], v[62:63]
	v_fma_f64 v[62:63], v[132:133], s[20:21], -v[96:97]
	v_fma_f64 v[116:117], v[114:115], s[4:5], -v[120:121]
	v_add_f64 v[44:45], v[44:45], v[46:47]
	v_add_f64 v[0:1], v[0:1], v[42:43]
	v_mul_f64 v[96:97], v[78:79], s[26:27]
	v_mul_f64 v[72:73], v[72:73], s[18:19]
	v_mul_f64 v[78:79], v[78:79], s[18:19]
	v_add_f64 v[42:43], v[181:182], v[48:49]
	v_add_f64 v[46:47], v[177:178], v[50:51]
	v_fma_f64 v[48:49], v[114:115], s[4:5], v[120:121]
	v_mul_f64 v[140:141], v[76:77], s[16:17]
	v_fma_f64 v[155:156], v[128:129], s[4:5], v[124:125]
	v_mul_f64 v[80:81], v[70:71], s[18:19]
	v_add_f64 v[132:133], v[161:162], v[167:168]
	v_fma_f64 v[161:162], v[114:115], s[0:1], -v[74:75]
	v_fma_f64 v[167:168], v[128:129], s[0:1], v[82:83]
	v_add_f64 v[165:166], v[179:180], v[165:166]
	v_mul_f64 v[157:158], v[76:77], s[18:19]
	v_add_f64 v[50:51], v[54:55], v[60:61]
	v_fma_f64 v[54:55], v[128:129], s[4:5], -v[124:125]
	v_add_f64 v[58:59], v[147:148], v[58:59]
	v_fma_f64 v[60:61], v[114:115], s[0:1], v[74:75]
	v_add_f64 v[30:31], v[56:57], v[30:31]
	v_fma_f64 v[56:57], v[128:129], s[0:1], -v[82:83]
	v_add_f64 v[28:29], v[62:63], v[28:29]
	v_mul_f64 v[62:63], v[70:71], s[14:15]
	v_fma_f64 v[82:83], v[112:113], s[0:1], -v[52:53]
	v_add_f64 v[38:39], v[44:45], v[38:39]
	v_add_f64 v[0:1], v[0:1], v[36:37]
	v_fma_f64 v[173:174], v[112:113], s[12:13], -v[173:174]
	v_add_f64 v[4:5], v[151:152], v[4:5]
	v_mul_f64 v[74:75], v[76:77], s[14:15]
	v_mul_f64 v[70:71], v[70:71], s[22:23]
	;; [unrolled: 1-line block ×3, first 2 shown]
	v_fma_f64 v[120:121], v[112:113], s[2:3], -v[72:73]
	v_add_f64 v[114:115], v[116:117], v[132:133]
	v_fma_f64 v[128:129], v[126:127], s[2:3], v[78:79]
	v_add_f64 v[36:37], v[167:168], v[42:43]
	v_add_f64 v[124:125], v[161:162], v[165:166]
	v_fma_f64 v[116:117], v[126:127], s[0:1], v[96:97]
	v_add_f64 v[42:43], v[155:156], v[46:47]
	v_fma_f64 v[151:152], v[126:127], s[12:13], v[183:184]
	v_add_f64 v[191:192], v[203:204], v[195:196]
	v_fma_f64 v[44:45], v[112:113], s[0:1], v[52:53]
	v_add_f64 v[46:47], v[48:49], v[50:51]
	v_fma_f64 v[48:49], v[126:127], s[0:1], -v[96:97]
	v_add_f64 v[50:51], v[54:55], v[58:59]
	v_fma_f64 v[52:53], v[112:113], s[2:3], v[72:73]
	v_add_f64 v[30:31], v[60:61], v[30:31]
	v_fma_f64 v[54:55], v[126:127], s[2:3], -v[78:79]
	v_add_f64 v[28:29], v[56:57], v[28:29]
	v_fma_f64 v[58:59], v[98:99], s[12:13], -v[62:63]
	v_add_f64 v[112:113], v[38:39], v[34:35]
	v_add_f64 v[0:1], v[0:1], v[32:33]
	v_fma_f64 v[136:137], v[98:99], s[2:3], v[80:81]
	v_fma_f64 v[56:57], v[98:99], s[2:3], -v[80:81]
	v_add_f64 v[4:5], v[173:174], v[4:5]
	v_add_f64 v[60:61], v[82:83], v[114:115]
	v_fma_f64 v[80:81], v[98:99], s[4:5], -v[70:71]
	v_fma_f64 v[96:97], v[118:119], s[4:5], v[76:77]
	v_add_f64 v[82:83], v[120:121], v[124:125]
	v_add_f64 v[36:37], v[128:129], v[36:37]
	v_fma_f64 v[78:79], v[118:119], s[12:13], v[74:75]
	v_add_f64 v[114:115], v[116:117], v[42:43]
	v_fma_f64 v[72:73], v[118:119], s[2:3], v[157:158]
	v_add_f64 v[66:67], v[151:152], v[66:67]
	v_fma_f64 v[199:200], v[118:119], s[0:1], -v[140:141]
	v_fma_f64 v[134:135], v[98:99], s[0:1], -v[134:135]
	v_fma_f64 v[140:141], v[118:119], s[0:1], v[140:141]
	v_add_f64 v[163:164], v[163:164], v[191:192]
	v_fma_f64 v[175:176], v[118:119], s[2:3], -v[157:158]
	v_fma_f64 v[62:63], v[98:99], s[12:13], v[62:63]
	v_add_f64 v[116:117], v[44:45], v[46:47]
	v_fma_f64 v[74:75], v[118:119], s[12:13], -v[74:75]
	v_add_f64 v[120:121], v[48:49], v[50:51]
	v_fma_f64 v[70:71], v[98:99], s[4:5], v[70:71]
	v_add_f64 v[98:99], v[52:53], v[30:31]
	v_fma_f64 v[76:77], v[118:119], s[4:5], -v[76:77]
	v_add_f64 v[118:119], v[54:55], v[28:29]
	v_add_f64 v[52:53], v[58:59], v[60:61]
	;; [unrolled: 1-line block ×8, first 2 shown]
	v_lshrrev_b32_e32 v0, 4, v146
	v_add_f64 v[46:47], v[72:73], v[66:67]
	v_add_f64 v[44:45], v[64:65], v[142:143]
	;; [unrolled: 1-line block ×8, first 2 shown]
	v_mul_u32_u24_e32 v0, 0xb0, v0
	v_and_b32_e32 v1, 15, v146
	v_add_f64 v[26:27], v[136:137], v[144:145]
	v_add_f64 v[24:25], v[175:176], v[159:160]
	;; [unrolled: 1-line block ×6, first 2 shown]
	v_or_b32_e32 v0, v0, v1
	v_lshlrev_b32_e32 v0, 4, v0
	ds_write_b128 v0, v[58:61]
	ds_write_b128 v0, v[54:57] offset:256
	ds_write_b128 v0, v[50:53] offset:512
	ds_write_b128 v0, v[46:49] offset:768
	ds_write_b128 v0, v[42:45] offset:1024
	ds_write_b128 v0, v[28:31] offset:1280
	ds_write_b128 v0, v[38:41] offset:1536
	ds_write_b128 v0, v[32:35] offset:1792
	ds_write_b128 v0, v[24:27] offset:2048
	ds_write_b128 v0, v[62:65] offset:2304
	ds_write_b128 v0, v[66:69] offset:2560
.LBB0_45:
	s_or_b32 exec_lo, exec_lo, s33
	s_waitcnt lgkmcnt(0)
	s_barrier
	buffer_gl0_inv
	ds_read_b128 v[24:27], v2 offset:2816
	ds_read_b128 v[28:31], v2 offset:5632
	;; [unrolled: 1-line block ×6, first 2 shown]
	s_mov_b32 s0, 0x37e14327
	s_mov_b32 s1, 0x3fe948f6
	;; [unrolled: 1-line block ×10, first 2 shown]
	s_waitcnt lgkmcnt(5)
	v_mul_f64 v[0:1], v[90:91], v[26:27]
	v_mul_f64 v[4:5], v[90:91], v[24:25]
	s_waitcnt lgkmcnt(4)
	v_mul_f64 v[6:7], v[86:87], v[30:31]
	v_mul_f64 v[48:49], v[86:87], v[28:29]
	;; [unrolled: 3-line block ×6, first 2 shown]
	v_fma_f64 v[0:1], v[88:89], v[24:25], v[0:1]
	v_fma_f64 v[4:5], v[88:89], v[26:27], -v[4:5]
	v_fma_f64 v[6:7], v[84:85], v[28:29], v[6:7]
	v_fma_f64 v[24:25], v[84:85], v[30:31], -v[48:49]
	;; [unrolled: 2-line block ×6, first 2 shown]
	v_add_f64 v[42:43], v[0:1], v[26:27]
	v_add_f64 v[44:45], v[4:5], v[28:29]
	;; [unrolled: 1-line block ×4, first 2 shown]
	v_add_f64 v[6:7], v[6:7], -v[30:31]
	v_add_f64 v[30:31], v[24:25], -v[32:33]
	v_add_f64 v[50:51], v[34:35], v[38:39]
	v_add_f64 v[52:53], v[36:37], v[40:41]
	v_add_f64 v[32:33], v[38:39], -v[34:35]
	v_add_f64 v[34:35], v[40:41], -v[36:37]
	;; [unrolled: 1-line block ×4, first 2 shown]
	ds_read_b128 v[24:27], v2
	v_add_f64 v[28:29], v[46:47], v[42:43]
	v_add_f64 v[36:37], v[48:49], v[44:45]
	v_add_f64 v[38:39], v[42:43], -v[50:51]
	v_add_f64 v[40:41], v[44:45], -v[52:53]
	;; [unrolled: 1-line block ×10, first 2 shown]
	v_add_f64 v[6:7], v[32:33], v[6:7]
	v_add_f64 v[30:31], v[34:35], v[30:31]
	v_add_f64 v[32:33], v[0:1], -v[32:33]
	v_add_f64 v[34:35], v[4:5], -v[34:35]
	v_add_f64 v[28:29], v[50:51], v[28:29]
	v_add_f64 v[36:37], v[52:53], v[36:37]
	v_mul_f64 v[38:39], v[38:39], s[0:1]
	v_mul_f64 v[40:41], v[40:41], s[0:1]
	s_mov_b32 s0, 0x429ad128
	v_mul_f64 v[46:47], v[54:55], s[2:3]
	v_mul_f64 v[48:49], v[56:57], s[2:3]
	;; [unrolled: 1-line block ×4, first 2 shown]
	s_mov_b32 s1, 0xbfebfeb5
	s_mov_b32 s4, 0xaaaaaaaa
	v_mul_f64 v[58:59], v[62:63], s[0:1]
	v_mul_f64 v[60:61], v[64:65], s[0:1]
	s_mov_b32 s5, 0xbff2aaaa
	v_add_f64 v[0:1], v[6:7], v[0:1]
	v_add_f64 v[4:5], v[30:31], v[4:5]
	s_waitcnt lgkmcnt(0)
	v_add_f64 v[24:25], v[24:25], v[28:29]
	v_add_f64 v[26:27], v[26:27], v[36:37]
	v_fma_f64 v[6:7], v[54:55], s[2:3], v[38:39]
	v_fma_f64 v[30:31], v[56:57], s[2:3], v[40:41]
	s_mov_b32 s2, 0x606a63be
	v_fma_f64 v[46:47], v[42:43], s[12:13], -v[46:47]
	v_fma_f64 v[48:49], v[44:45], s[12:13], -v[48:49]
	s_mov_b32 s13, 0xbfe77f67
	v_fma_f64 v[54:55], v[32:33], s[14:15], v[50:51]
	v_fma_f64 v[56:57], v[34:35], s[14:15], v[52:53]
	s_mov_b32 s15, 0x3fd5d0dc
	v_fma_f64 v[50:51], v[62:63], s[0:1], -v[50:51]
	v_fma_f64 v[32:33], v[32:33], s[14:15], -v[58:59]
	;; [unrolled: 1-line block ×6, first 2 shown]
	s_mov_b32 s0, 0x37c3f68c
	s_mov_b32 s1, 0xbfdc38aa
	;; [unrolled: 1-line block ×3, first 2 shown]
	v_fma_f64 v[28:29], v[28:29], s[4:5], v[24:25]
	v_fma_f64 v[36:37], v[36:37], s[4:5], v[26:27]
	s_mul_hi_u32 s4, s8, 0x268
	s_mul_hi_u32 s5, s8, 0xfffffe48
	v_fma_f64 v[54:55], v[0:1], s[0:1], v[54:55]
	v_fma_f64 v[56:57], v[4:5], s[0:1], v[56:57]
	;; [unrolled: 1-line block ×6, first 2 shown]
	s_mul_i32 s1, s9, 0x268
	s_mul_i32 s0, s8, 0x268
	s_add_i32 s1, s4, s1
	v_add_f64 v[6:7], v[6:7], v[28:29]
	v_add_f64 v[50:51], v[30:31], v[36:37]
	;; [unrolled: 1-line block ×7, first 2 shown]
	v_add_f64 v[30:31], v[50:51], -v[54:55]
	v_add_f64 v[34:35], v[58:59], -v[0:1]
	;; [unrolled: 1-line block ×3, first 2 shown]
	v_add_f64 v[38:39], v[42:43], v[46:47]
	v_add_f64 v[42:43], v[46:47], -v[42:43]
	v_add_f64 v[46:47], v[0:1], v[58:59]
	s_clause 0x1
	buffer_load_dword v0, off, s[40:43], 0 offset:12
	buffer_load_dword v1, off, s[40:43], 0 offset:16
	v_add_f64 v[32:33], v[4:5], v[52:53]
	v_add_f64 v[40:41], v[44:45], v[40:41]
	v_add_f64 v[44:45], v[52:53], -v[4:5]
	v_add_f64 v[48:49], v[6:7], -v[56:57]
	v_add_f64 v[50:51], v[54:55], v[50:51]
	v_mad_u64_u32 v[4:5], null, s8, v146, 0
	ds_write_b128 v2, v[24:27]
	ds_write_b128 v2, v[28:31] offset:2816
	ds_write_b128 v2, v[32:35] offset:5632
	;; [unrolled: 1-line block ×6, first 2 shown]
	s_waitcnt vmcnt(0) lgkmcnt(0)
	s_barrier
	buffer_gl0_inv
	ds_read_b128 v[24:27], v2
	ds_read_b128 v[28:31], v2 offset:9856
	ds_read_b128 v[32:35], v2 offset:2816
	;; [unrolled: 1-line block ×5, first 2 shown]
	s_clause 0x3
	buffer_load_dword v64, off, s[40:43], 0 offset:20
	buffer_load_dword v65, off, s[40:43], 0 offset:24
	;; [unrolled: 1-line block ×4, first 2 shown]
	s_waitcnt lgkmcnt(3)
	v_mul_f64 v[55:56], v[10:11], v[34:35]
	v_mul_f64 v[10:11], v[10:11], v[32:33]
	s_waitcnt lgkmcnt(2)
	v_mul_f64 v[57:58], v[14:15], v[38:39]
	v_mul_f64 v[14:15], v[14:15], v[36:37]
	s_waitcnt lgkmcnt(1)
	v_mul_f64 v[59:60], v[18:19], v[42:43]
	v_mul_f64 v[18:19], v[18:19], v[40:41]
	s_waitcnt lgkmcnt(0)
	v_mul_f64 v[61:62], v[22:23], v[46:47]
	v_mul_f64 v[22:23], v[22:23], v[44:45]
	v_mov_b32_e32 v6, v0
	v_mad_u64_u32 v[0:1], null, s10, v6, 0
	s_mul_i32 s10, s8, 0xfffffe48
	s_sub_i32 s8, s5, s8
	s_lshl_b64 s[4:5], s[0:1], 4
	v_mad_u64_u32 v[6:7], null, s11, v6, v[1:2]
	v_mov_b32_e32 v1, v5
	s_mul_i32 s11, s9, 0xfffffe48
	s_add_i32 s11, s8, s11
	v_mad_u64_u32 v[48:49], null, s9, v146, v[1:2]
	v_mov_b32_e32 v1, v6
	v_lshlrev_b64 v[0:1], 4, v[0:1]
	v_mov_b32_e32 v5, v48
	s_waitcnt vmcnt(0)
	v_mul_f64 v[6:7], v[66:67], v[26:27]
	v_mul_f64 v[49:50], v[66:67], v[24:25]
	s_clause 0x3
	buffer_load_dword v66, off, s[40:43], 0 offset:36
	buffer_load_dword v67, off, s[40:43], 0 offset:40
	;; [unrolled: 1-line block ×4, first 2 shown]
	v_add_co_u32 v48, s0, s6, v0
	v_add_co_ci_u32_e64 v63, s0, s7, v1, s0
	v_lshlrev_b64 v[4:5], 4, v[4:5]
	s_lshl_b64 s[6:7], s[10:11], 4
	v_fma_f64 v[0:1], v[64:65], v[24:25], v[6:7]
	v_fma_f64 v[6:7], v[64:65], v[26:27], -v[49:50]
	v_mul_f64 v[6:7], v[6:7], s[2:3]
	s_waitcnt vmcnt(0)
	v_mul_f64 v[51:52], v[68:69], v[30:31]
	v_mul_f64 v[53:54], v[68:69], v[28:29]
	v_fma_f64 v[24:25], v[66:67], v[28:29], v[51:52]
	v_fma_f64 v[28:29], v[8:9], v[32:33], v[55:56]
	v_fma_f64 v[26:27], v[66:67], v[30:31], -v[53:54]
	v_fma_f64 v[30:31], v[8:9], v[34:35], -v[10:11]
	v_fma_f64 v[32:33], v[12:13], v[36:37], v[57:58]
	v_fma_f64 v[34:35], v[12:13], v[38:39], -v[14:15]
	v_fma_f64 v[36:37], v[16:17], v[40:41], v[59:60]
	;; [unrolled: 2-line block ×3, first 2 shown]
	v_fma_f64 v[42:43], v[20:21], v[46:47], -v[22:23]
	v_add_co_u32 v44, s0, v48, v4
	v_add_co_ci_u32_e64 v45, s0, v63, v5, s0
	v_mul_f64 v[4:5], v[0:1], s[2:3]
	v_add_co_u32 v46, s0, v44, s4
	v_add_co_ci_u32_e64 v47, s0, s5, v45, s0
	v_mul_f64 v[8:9], v[24:25], s[2:3]
	v_mul_f64 v[12:13], v[28:29], s[2:3]
	v_add_co_u32 v28, s0, v46, s6
	v_mul_f64 v[10:11], v[26:27], s[2:3]
	v_mul_f64 v[14:15], v[30:31], s[2:3]
	v_add_co_ci_u32_e64 v29, s0, s7, v47, s0
	v_mul_f64 v[16:17], v[32:33], s[2:3]
	v_mul_f64 v[18:19], v[34:35], s[2:3]
	;; [unrolled: 1-line block ×6, first 2 shown]
	v_add_co_u32 v30, s0, v28, s4
	v_add_co_ci_u32_e64 v31, s0, s5, v29, s0
	v_add_co_u32 v32, s0, v30, s6
	v_add_co_ci_u32_e64 v33, s0, s7, v31, s0
	;; [unrolled: 2-line block ×3, first 2 shown]
	global_store_dwordx4 v[44:45], v[4:7], off
	global_store_dwordx4 v[46:47], v[8:11], off
	;; [unrolled: 1-line block ×6, first 2 shown]
	s_and_b32 exec_lo, exec_lo, vcc_lo
	s_cbranch_execz .LBB0_47
; %bb.46:
	v_add_co_u32 v7, vcc_lo, 0x4000, v3
	s_clause 0x1
	buffer_load_dword v3, off, s[40:43], 0 offset:4
	buffer_load_dword v4, off, s[40:43], 0 offset:8
	v_add_co_ci_u32_e32 v8, vcc_lo, 0, v255, vcc_lo
	v_add_co_u32 v0, vcc_lo, v0, s6
	v_add_co_ci_u32_e32 v1, vcc_lo, s7, v1, vcc_lo
	s_waitcnt vmcnt(0)
	s_clause 0x1
	global_load_dwordx4 v[3:6], v[3:4], off offset:256
	global_load_dwordx4 v[7:10], v[7:8], off offset:1920
	ds_read_b128 v[11:14], v2 offset:8448
	ds_read_b128 v[15:18], v2 offset:18304
	s_waitcnt vmcnt(1) lgkmcnt(1)
	v_mul_f64 v[19:20], v[13:14], v[5:6]
	v_mul_f64 v[5:6], v[11:12], v[5:6]
	s_waitcnt vmcnt(0) lgkmcnt(0)
	v_mul_f64 v[21:22], v[17:18], v[9:10]
	v_mul_f64 v[9:10], v[15:16], v[9:10]
	v_fma_f64 v[11:12], v[11:12], v[3:4], v[19:20]
	v_fma_f64 v[4:5], v[3:4], v[13:14], -v[5:6]
	v_fma_f64 v[13:14], v[15:16], v[7:8], v[21:22]
	v_fma_f64 v[8:9], v[7:8], v[17:18], -v[9:10]
	v_add_co_u32 v10, vcc_lo, v0, s4
	v_mul_f64 v[2:3], v[11:12], s[2:3]
	v_mul_f64 v[4:5], v[4:5], s[2:3]
	;; [unrolled: 1-line block ×4, first 2 shown]
	v_add_co_ci_u32_e32 v11, vcc_lo, s5, v1, vcc_lo
	global_store_dwordx4 v[0:1], v[2:5], off
	global_store_dwordx4 v[10:11], v[6:9], off
.LBB0_47:
	s_endpgm
	.section	.rodata,"a",@progbits
	.p2align	6, 0x0
	.amdhsa_kernel bluestein_single_fwd_len1232_dim1_dp_op_CI_CI
		.amdhsa_group_segment_fixed_size 19712
		.amdhsa_private_segment_fixed_size 104
		.amdhsa_kernarg_size 104
		.amdhsa_user_sgpr_count 6
		.amdhsa_user_sgpr_private_segment_buffer 1
		.amdhsa_user_sgpr_dispatch_ptr 0
		.amdhsa_user_sgpr_queue_ptr 0
		.amdhsa_user_sgpr_kernarg_segment_ptr 1
		.amdhsa_user_sgpr_dispatch_id 0
		.amdhsa_user_sgpr_flat_scratch_init 0
		.amdhsa_user_sgpr_private_segment_size 0
		.amdhsa_wavefront_size32 1
		.amdhsa_uses_dynamic_stack 0
		.amdhsa_system_sgpr_private_segment_wavefront_offset 1
		.amdhsa_system_sgpr_workgroup_id_x 1
		.amdhsa_system_sgpr_workgroup_id_y 0
		.amdhsa_system_sgpr_workgroup_id_z 0
		.amdhsa_system_sgpr_workgroup_info 0
		.amdhsa_system_vgpr_workitem_id 0
		.amdhsa_next_free_vgpr 256
		.amdhsa_next_free_sgpr 44
		.amdhsa_reserve_vcc 1
		.amdhsa_reserve_flat_scratch 0
		.amdhsa_float_round_mode_32 0
		.amdhsa_float_round_mode_16_64 0
		.amdhsa_float_denorm_mode_32 3
		.amdhsa_float_denorm_mode_16_64 3
		.amdhsa_dx10_clamp 1
		.amdhsa_ieee_mode 1
		.amdhsa_fp16_overflow 0
		.amdhsa_workgroup_processor_mode 1
		.amdhsa_memory_ordered 1
		.amdhsa_forward_progress 0
		.amdhsa_shared_vgpr_count 0
		.amdhsa_exception_fp_ieee_invalid_op 0
		.amdhsa_exception_fp_denorm_src 0
		.amdhsa_exception_fp_ieee_div_zero 0
		.amdhsa_exception_fp_ieee_overflow 0
		.amdhsa_exception_fp_ieee_underflow 0
		.amdhsa_exception_fp_ieee_inexact 0
		.amdhsa_exception_int_div_zero 0
	.end_amdhsa_kernel
	.text
.Lfunc_end0:
	.size	bluestein_single_fwd_len1232_dim1_dp_op_CI_CI, .Lfunc_end0-bluestein_single_fwd_len1232_dim1_dp_op_CI_CI
                                        ; -- End function
	.section	.AMDGPU.csdata,"",@progbits
; Kernel info:
; codeLenInByte = 15960
; NumSgprs: 46
; NumVgprs: 256
; ScratchSize: 104
; MemoryBound: 0
; FloatMode: 240
; IeeeMode: 1
; LDSByteSize: 19712 bytes/workgroup (compile time only)
; SGPRBlocks: 5
; VGPRBlocks: 31
; NumSGPRsForWavesPerEU: 46
; NumVGPRsForWavesPerEU: 256
; Occupancy: 4
; WaveLimiterHint : 1
; COMPUTE_PGM_RSRC2:SCRATCH_EN: 1
; COMPUTE_PGM_RSRC2:USER_SGPR: 6
; COMPUTE_PGM_RSRC2:TRAP_HANDLER: 0
; COMPUTE_PGM_RSRC2:TGID_X_EN: 1
; COMPUTE_PGM_RSRC2:TGID_Y_EN: 0
; COMPUTE_PGM_RSRC2:TGID_Z_EN: 0
; COMPUTE_PGM_RSRC2:TIDIG_COMP_CNT: 0
	.text
	.p2alignl 6, 3214868480
	.fill 48, 4, 3214868480
	.type	__hip_cuid_3b67bb748c10d54a,@object ; @__hip_cuid_3b67bb748c10d54a
	.section	.bss,"aw",@nobits
	.globl	__hip_cuid_3b67bb748c10d54a
__hip_cuid_3b67bb748c10d54a:
	.byte	0                               ; 0x0
	.size	__hip_cuid_3b67bb748c10d54a, 1

	.ident	"AMD clang version 19.0.0git (https://github.com/RadeonOpenCompute/llvm-project roc-6.4.0 25133 c7fe45cf4b819c5991fe208aaa96edf142730f1d)"
	.section	".note.GNU-stack","",@progbits
	.addrsig
	.addrsig_sym __hip_cuid_3b67bb748c10d54a
	.amdgpu_metadata
---
amdhsa.kernels:
  - .args:
      - .actual_access:  read_only
        .address_space:  global
        .offset:         0
        .size:           8
        .value_kind:     global_buffer
      - .actual_access:  read_only
        .address_space:  global
        .offset:         8
        .size:           8
        .value_kind:     global_buffer
      - .actual_access:  read_only
        .address_space:  global
        .offset:         16
        .size:           8
        .value_kind:     global_buffer
      - .actual_access:  read_only
        .address_space:  global
        .offset:         24
        .size:           8
        .value_kind:     global_buffer
      - .actual_access:  read_only
        .address_space:  global
        .offset:         32
        .size:           8
        .value_kind:     global_buffer
      - .offset:         40
        .size:           8
        .value_kind:     by_value
      - .address_space:  global
        .offset:         48
        .size:           8
        .value_kind:     global_buffer
      - .address_space:  global
        .offset:         56
        .size:           8
        .value_kind:     global_buffer
      - .address_space:  global
        .offset:         64
        .size:           8
        .value_kind:     global_buffer
      - .address_space:  global
        .offset:         72
        .size:           8
        .value_kind:     global_buffer
      - .offset:         80
        .size:           4
        .value_kind:     by_value
      - .address_space:  global
        .offset:         88
        .size:           8
        .value_kind:     global_buffer
      - .address_space:  global
        .offset:         96
        .size:           8
        .value_kind:     global_buffer
    .group_segment_fixed_size: 19712
    .kernarg_segment_align: 8
    .kernarg_segment_size: 104
    .language:       OpenCL C
    .language_version:
      - 2
      - 0
    .max_flat_workgroup_size: 176
    .name:           bluestein_single_fwd_len1232_dim1_dp_op_CI_CI
    .private_segment_fixed_size: 104
    .sgpr_count:     46
    .sgpr_spill_count: 0
    .symbol:         bluestein_single_fwd_len1232_dim1_dp_op_CI_CI.kd
    .uniform_work_group_size: 1
    .uses_dynamic_stack: false
    .vgpr_count:     256
    .vgpr_spill_count: 25
    .wavefront_size: 32
    .workgroup_processor_mode: 1
amdhsa.target:   amdgcn-amd-amdhsa--gfx1030
amdhsa.version:
  - 1
  - 2
...

	.end_amdgpu_metadata
